;; amdgpu-corpus repo=ROCm/rocFFT kind=compiled arch=gfx1100 opt=O3
	.text
	.amdgcn_target "amdgcn-amd-amdhsa--gfx1100"
	.amdhsa_code_object_version 6
	.protected	fft_rtc_fwd_len3200_factors_10_10_4_4_2_wgs_160_tpt_160_halfLds_dp_ip_CI_unitstride_sbrr_C2R_dirReg ; -- Begin function fft_rtc_fwd_len3200_factors_10_10_4_4_2_wgs_160_tpt_160_halfLds_dp_ip_CI_unitstride_sbrr_C2R_dirReg
	.globl	fft_rtc_fwd_len3200_factors_10_10_4_4_2_wgs_160_tpt_160_halfLds_dp_ip_CI_unitstride_sbrr_C2R_dirReg
	.p2align	8
	.type	fft_rtc_fwd_len3200_factors_10_10_4_4_2_wgs_160_tpt_160_halfLds_dp_ip_CI_unitstride_sbrr_C2R_dirReg,@function
fft_rtc_fwd_len3200_factors_10_10_4_4_2_wgs_160_tpt_160_halfLds_dp_ip_CI_unitstride_sbrr_C2R_dirReg: ; @fft_rtc_fwd_len3200_factors_10_10_4_4_2_wgs_160_tpt_160_halfLds_dp_ip_CI_unitstride_sbrr_C2R_dirReg
; %bb.0:
	s_clause 0x2
	s_load_b128 s[4:7], s[0:1], 0x0
	s_load_b64 s[8:9], s[0:1], 0x50
	s_load_b64 s[10:11], s[0:1], 0x18
	v_mul_u32_u24_e32 v1, 0x19a, v0
	v_mov_b32_e32 v3, 0
	v_mov_b32_e32 v4, 0
	s_delay_alu instid0(VALU_DEP_3) | instskip(SKIP_1) | instid1(VALU_DEP_1)
	v_lshrrev_b32_e32 v2, 16, v1
	v_mov_b32_e32 v1, 0
	v_dual_mov_b32 v6, v1 :: v_dual_add_nc_u32 v5, s15, v2
	s_waitcnt lgkmcnt(0)
	v_cmp_lt_u64_e64 s2, s[6:7], 2
	s_delay_alu instid0(VALU_DEP_1)
	s_and_b32 vcc_lo, exec_lo, s2
	s_cbranch_vccnz .LBB0_8
; %bb.1:
	s_load_b64 s[2:3], s[0:1], 0x10
	v_mov_b32_e32 v3, 0
	s_add_u32 s12, s10, 8
	v_mov_b32_e32 v4, 0
	s_addc_u32 s13, s11, 0
	s_mov_b64 s[16:17], 1
	s_waitcnt lgkmcnt(0)
	s_add_u32 s14, s2, 8
	s_addc_u32 s15, s3, 0
.LBB0_2:                                ; =>This Inner Loop Header: Depth=1
	s_load_b64 s[18:19], s[14:15], 0x0
                                        ; implicit-def: $vgpr7_vgpr8
	s_mov_b32 s2, exec_lo
	s_waitcnt lgkmcnt(0)
	v_or_b32_e32 v2, s19, v6
	s_delay_alu instid0(VALU_DEP_1)
	v_cmpx_ne_u64_e32 0, v[1:2]
	s_xor_b32 s3, exec_lo, s2
	s_cbranch_execz .LBB0_4
; %bb.3:                                ;   in Loop: Header=BB0_2 Depth=1
	v_cvt_f32_u32_e32 v2, s18
	v_cvt_f32_u32_e32 v7, s19
	s_sub_u32 s2, 0, s18
	s_subb_u32 s20, 0, s19
	s_delay_alu instid0(VALU_DEP_1) | instskip(NEXT) | instid1(VALU_DEP_1)
	v_fmac_f32_e32 v2, 0x4f800000, v7
	v_rcp_f32_e32 v2, v2
	s_waitcnt_depctr 0xfff
	v_mul_f32_e32 v2, 0x5f7ffffc, v2
	s_delay_alu instid0(VALU_DEP_1) | instskip(NEXT) | instid1(VALU_DEP_1)
	v_mul_f32_e32 v7, 0x2f800000, v2
	v_trunc_f32_e32 v7, v7
	s_delay_alu instid0(VALU_DEP_1) | instskip(SKIP_1) | instid1(VALU_DEP_2)
	v_fmac_f32_e32 v2, 0xcf800000, v7
	v_cvt_u32_f32_e32 v7, v7
	v_cvt_u32_f32_e32 v2, v2
	s_delay_alu instid0(VALU_DEP_2) | instskip(NEXT) | instid1(VALU_DEP_2)
	v_mul_lo_u32 v8, s2, v7
	v_mul_hi_u32 v9, s2, v2
	v_mul_lo_u32 v10, s20, v2
	s_delay_alu instid0(VALU_DEP_2) | instskip(SKIP_1) | instid1(VALU_DEP_2)
	v_add_nc_u32_e32 v8, v9, v8
	v_mul_lo_u32 v9, s2, v2
	v_add_nc_u32_e32 v8, v8, v10
	s_delay_alu instid0(VALU_DEP_2) | instskip(NEXT) | instid1(VALU_DEP_2)
	v_mul_hi_u32 v10, v2, v9
	v_mul_lo_u32 v11, v2, v8
	v_mul_hi_u32 v12, v2, v8
	v_mul_hi_u32 v13, v7, v9
	v_mul_lo_u32 v9, v7, v9
	v_mul_hi_u32 v14, v7, v8
	v_mul_lo_u32 v8, v7, v8
	v_add_co_u32 v10, vcc_lo, v10, v11
	v_add_co_ci_u32_e32 v11, vcc_lo, 0, v12, vcc_lo
	s_delay_alu instid0(VALU_DEP_2) | instskip(NEXT) | instid1(VALU_DEP_2)
	v_add_co_u32 v9, vcc_lo, v10, v9
	v_add_co_ci_u32_e32 v9, vcc_lo, v11, v13, vcc_lo
	v_add_co_ci_u32_e32 v10, vcc_lo, 0, v14, vcc_lo
	s_delay_alu instid0(VALU_DEP_2) | instskip(NEXT) | instid1(VALU_DEP_2)
	v_add_co_u32 v8, vcc_lo, v9, v8
	v_add_co_ci_u32_e32 v9, vcc_lo, 0, v10, vcc_lo
	s_delay_alu instid0(VALU_DEP_2) | instskip(NEXT) | instid1(VALU_DEP_2)
	v_add_co_u32 v2, vcc_lo, v2, v8
	v_add_co_ci_u32_e32 v7, vcc_lo, v7, v9, vcc_lo
	s_delay_alu instid0(VALU_DEP_2) | instskip(SKIP_1) | instid1(VALU_DEP_3)
	v_mul_hi_u32 v8, s2, v2
	v_mul_lo_u32 v10, s20, v2
	v_mul_lo_u32 v9, s2, v7
	s_delay_alu instid0(VALU_DEP_1) | instskip(SKIP_1) | instid1(VALU_DEP_2)
	v_add_nc_u32_e32 v8, v8, v9
	v_mul_lo_u32 v9, s2, v2
	v_add_nc_u32_e32 v8, v8, v10
	s_delay_alu instid0(VALU_DEP_2) | instskip(NEXT) | instid1(VALU_DEP_2)
	v_mul_hi_u32 v10, v2, v9
	v_mul_lo_u32 v11, v2, v8
	v_mul_hi_u32 v12, v2, v8
	v_mul_hi_u32 v13, v7, v9
	v_mul_lo_u32 v9, v7, v9
	v_mul_hi_u32 v14, v7, v8
	v_mul_lo_u32 v8, v7, v8
	v_add_co_u32 v10, vcc_lo, v10, v11
	v_add_co_ci_u32_e32 v11, vcc_lo, 0, v12, vcc_lo
	s_delay_alu instid0(VALU_DEP_2) | instskip(NEXT) | instid1(VALU_DEP_2)
	v_add_co_u32 v9, vcc_lo, v10, v9
	v_add_co_ci_u32_e32 v9, vcc_lo, v11, v13, vcc_lo
	v_add_co_ci_u32_e32 v10, vcc_lo, 0, v14, vcc_lo
	s_delay_alu instid0(VALU_DEP_2) | instskip(NEXT) | instid1(VALU_DEP_2)
	v_add_co_u32 v8, vcc_lo, v9, v8
	v_add_co_ci_u32_e32 v9, vcc_lo, 0, v10, vcc_lo
	s_delay_alu instid0(VALU_DEP_2) | instskip(NEXT) | instid1(VALU_DEP_2)
	v_add_co_u32 v2, vcc_lo, v2, v8
	v_add_co_ci_u32_e32 v13, vcc_lo, v7, v9, vcc_lo
	s_delay_alu instid0(VALU_DEP_2) | instskip(SKIP_1) | instid1(VALU_DEP_3)
	v_mul_hi_u32 v14, v5, v2
	v_mad_u64_u32 v[9:10], null, v6, v2, 0
	v_mad_u64_u32 v[7:8], null, v5, v13, 0
	;; [unrolled: 1-line block ×3, first 2 shown]
	s_delay_alu instid0(VALU_DEP_2) | instskip(NEXT) | instid1(VALU_DEP_3)
	v_add_co_u32 v2, vcc_lo, v14, v7
	v_add_co_ci_u32_e32 v7, vcc_lo, 0, v8, vcc_lo
	s_delay_alu instid0(VALU_DEP_2) | instskip(NEXT) | instid1(VALU_DEP_2)
	v_add_co_u32 v2, vcc_lo, v2, v9
	v_add_co_ci_u32_e32 v2, vcc_lo, v7, v10, vcc_lo
	v_add_co_ci_u32_e32 v7, vcc_lo, 0, v12, vcc_lo
	s_delay_alu instid0(VALU_DEP_2) | instskip(NEXT) | instid1(VALU_DEP_2)
	v_add_co_u32 v2, vcc_lo, v2, v11
	v_add_co_ci_u32_e32 v9, vcc_lo, 0, v7, vcc_lo
	s_delay_alu instid0(VALU_DEP_2) | instskip(SKIP_1) | instid1(VALU_DEP_3)
	v_mul_lo_u32 v10, s19, v2
	v_mad_u64_u32 v[7:8], null, s18, v2, 0
	v_mul_lo_u32 v11, s18, v9
	s_delay_alu instid0(VALU_DEP_2) | instskip(NEXT) | instid1(VALU_DEP_2)
	v_sub_co_u32 v7, vcc_lo, v5, v7
	v_add3_u32 v8, v8, v11, v10
	s_delay_alu instid0(VALU_DEP_1) | instskip(NEXT) | instid1(VALU_DEP_1)
	v_sub_nc_u32_e32 v10, v6, v8
	v_subrev_co_ci_u32_e64 v10, s2, s19, v10, vcc_lo
	v_add_co_u32 v11, s2, v2, 2
	s_delay_alu instid0(VALU_DEP_1) | instskip(SKIP_3) | instid1(VALU_DEP_3)
	v_add_co_ci_u32_e64 v12, s2, 0, v9, s2
	v_sub_co_u32 v13, s2, v7, s18
	v_sub_co_ci_u32_e32 v8, vcc_lo, v6, v8, vcc_lo
	v_subrev_co_ci_u32_e64 v10, s2, 0, v10, s2
	v_cmp_le_u32_e32 vcc_lo, s18, v13
	s_delay_alu instid0(VALU_DEP_3) | instskip(SKIP_1) | instid1(VALU_DEP_4)
	v_cmp_eq_u32_e64 s2, s19, v8
	v_cndmask_b32_e64 v13, 0, -1, vcc_lo
	v_cmp_le_u32_e32 vcc_lo, s19, v10
	v_cndmask_b32_e64 v14, 0, -1, vcc_lo
	v_cmp_le_u32_e32 vcc_lo, s18, v7
	;; [unrolled: 2-line block ×3, first 2 shown]
	v_cndmask_b32_e64 v15, 0, -1, vcc_lo
	v_cmp_eq_u32_e32 vcc_lo, s19, v10
	s_delay_alu instid0(VALU_DEP_2) | instskip(SKIP_3) | instid1(VALU_DEP_3)
	v_cndmask_b32_e64 v7, v15, v7, s2
	v_cndmask_b32_e32 v10, v14, v13, vcc_lo
	v_add_co_u32 v13, vcc_lo, v2, 1
	v_add_co_ci_u32_e32 v14, vcc_lo, 0, v9, vcc_lo
	v_cmp_ne_u32_e32 vcc_lo, 0, v10
	s_delay_alu instid0(VALU_DEP_2) | instskip(NEXT) | instid1(VALU_DEP_4)
	v_cndmask_b32_e32 v8, v14, v12, vcc_lo
	v_cndmask_b32_e32 v10, v13, v11, vcc_lo
	v_cmp_ne_u32_e32 vcc_lo, 0, v7
	s_delay_alu instid0(VALU_DEP_2)
	v_dual_cndmask_b32 v7, v2, v10 :: v_dual_cndmask_b32 v8, v9, v8
.LBB0_4:                                ;   in Loop: Header=BB0_2 Depth=1
	s_and_not1_saveexec_b32 s2, s3
	s_cbranch_execz .LBB0_6
; %bb.5:                                ;   in Loop: Header=BB0_2 Depth=1
	v_cvt_f32_u32_e32 v2, s18
	s_sub_i32 s3, 0, s18
	s_delay_alu instid0(VALU_DEP_1) | instskip(SKIP_2) | instid1(VALU_DEP_1)
	v_rcp_iflag_f32_e32 v2, v2
	s_waitcnt_depctr 0xfff
	v_mul_f32_e32 v2, 0x4f7ffffe, v2
	v_cvt_u32_f32_e32 v2, v2
	s_delay_alu instid0(VALU_DEP_1) | instskip(NEXT) | instid1(VALU_DEP_1)
	v_mul_lo_u32 v7, s3, v2
	v_mul_hi_u32 v7, v2, v7
	s_delay_alu instid0(VALU_DEP_1) | instskip(NEXT) | instid1(VALU_DEP_1)
	v_add_nc_u32_e32 v2, v2, v7
	v_mul_hi_u32 v2, v5, v2
	s_delay_alu instid0(VALU_DEP_1) | instskip(SKIP_1) | instid1(VALU_DEP_2)
	v_mul_lo_u32 v7, v2, s18
	v_add_nc_u32_e32 v8, 1, v2
	v_sub_nc_u32_e32 v7, v5, v7
	s_delay_alu instid0(VALU_DEP_1) | instskip(SKIP_1) | instid1(VALU_DEP_2)
	v_subrev_nc_u32_e32 v9, s18, v7
	v_cmp_le_u32_e32 vcc_lo, s18, v7
	v_dual_cndmask_b32 v7, v7, v9 :: v_dual_cndmask_b32 v2, v2, v8
	s_delay_alu instid0(VALU_DEP_1) | instskip(NEXT) | instid1(VALU_DEP_2)
	v_cmp_le_u32_e32 vcc_lo, s18, v7
	v_add_nc_u32_e32 v8, 1, v2
	s_delay_alu instid0(VALU_DEP_1)
	v_dual_cndmask_b32 v7, v2, v8 :: v_dual_mov_b32 v8, v1
.LBB0_6:                                ;   in Loop: Header=BB0_2 Depth=1
	s_or_b32 exec_lo, exec_lo, s2
	s_load_b64 s[2:3], s[12:13], 0x0
	s_delay_alu instid0(VALU_DEP_1) | instskip(NEXT) | instid1(VALU_DEP_2)
	v_mul_lo_u32 v2, v8, s18
	v_mul_lo_u32 v11, v7, s19
	v_mad_u64_u32 v[9:10], null, v7, s18, 0
	s_add_u32 s16, s16, 1
	s_addc_u32 s17, s17, 0
	s_add_u32 s12, s12, 8
	s_addc_u32 s13, s13, 0
	;; [unrolled: 2-line block ×3, first 2 shown]
	s_delay_alu instid0(VALU_DEP_1) | instskip(SKIP_1) | instid1(VALU_DEP_2)
	v_add3_u32 v2, v10, v11, v2
	v_sub_co_u32 v9, vcc_lo, v5, v9
	v_sub_co_ci_u32_e32 v2, vcc_lo, v6, v2, vcc_lo
	s_waitcnt lgkmcnt(0)
	s_delay_alu instid0(VALU_DEP_2) | instskip(NEXT) | instid1(VALU_DEP_2)
	v_mul_lo_u32 v10, s3, v9
	v_mul_lo_u32 v2, s2, v2
	v_mad_u64_u32 v[5:6], null, s2, v9, v[3:4]
	v_cmp_ge_u64_e64 s2, s[16:17], s[6:7]
	s_delay_alu instid0(VALU_DEP_1) | instskip(NEXT) | instid1(VALU_DEP_2)
	s_and_b32 vcc_lo, exec_lo, s2
	v_add3_u32 v4, v10, v6, v2
	s_delay_alu instid0(VALU_DEP_3)
	v_mov_b32_e32 v3, v5
	s_cbranch_vccnz .LBB0_9
; %bb.7:                                ;   in Loop: Header=BB0_2 Depth=1
	v_dual_mov_b32 v5, v7 :: v_dual_mov_b32 v6, v8
	s_branch .LBB0_2
.LBB0_8:
	v_dual_mov_b32 v8, v6 :: v_dual_mov_b32 v7, v5
.LBB0_9:
	s_lshl_b64 s[2:3], s[6:7], 3
	v_mul_hi_u32 v5, 0x199999a, v0
	s_add_u32 s2, s10, s2
	s_addc_u32 s3, s11, s3
	s_load_b64 s[2:3], s[2:3], 0x0
	s_load_b64 s[0:1], s[0:1], 0x20
	s_waitcnt lgkmcnt(0)
	v_mul_lo_u32 v6, s2, v8
	v_mul_lo_u32 v9, s3, v7
	v_mad_u64_u32 v[1:2], null, s2, v7, v[3:4]
	v_mul_u32_u24_e32 v3, 0xa0, v5
	v_cmp_gt_u64_e32 vcc_lo, s[0:1], v[7:8]
	s_delay_alu instid0(VALU_DEP_2) | instskip(NEXT) | instid1(VALU_DEP_4)
	v_sub_nc_u32_e32 v4, v0, v3
	v_add3_u32 v2, v9, v2, v6
	s_delay_alu instid0(VALU_DEP_2) | instskip(NEXT) | instid1(VALU_DEP_2)
	v_dual_mov_b32 v5, 0 :: v_dual_mov_b32 v60, v4
	v_lshlrev_b64 v[62:63], 4, v[1:2]
	s_and_saveexec_b32 s1, vcc_lo
	s_cbranch_execz .LBB0_13
; %bb.10:
	s_delay_alu instid0(VALU_DEP_2) | instskip(NEXT) | instid1(VALU_DEP_2)
	v_lshlrev_b64 v[0:1], 4, v[4:5]
	v_add_co_u32 v2, s0, s8, v62
	s_delay_alu instid0(VALU_DEP_1) | instskip(SKIP_1) | instid1(VALU_DEP_3)
	v_add_co_ci_u32_e64 v3, s0, s9, v63, s0
	v_or_b32_e32 v20, 0x500, v4
	v_add_co_u32 v0, s0, v2, v0
	s_delay_alu instid0(VALU_DEP_1) | instskip(SKIP_1) | instid1(VALU_DEP_3)
	v_add_co_ci_u32_e64 v1, s0, v3, v1, s0
	v_mov_b32_e32 v21, v5
	v_add_co_u32 v14, s0, 0x1000, v0
	s_delay_alu instid0(VALU_DEP_1) | instskip(SKIP_1) | instid1(VALU_DEP_1)
	v_add_co_ci_u32_e64 v15, s0, 0, v1, s0
	v_add_co_u32 v18, s0, 0x2000, v0
	v_add_co_ci_u32_e64 v19, s0, 0, v1, s0
	v_add_co_u32 v26, s0, 0x3000, v0
	v_lshlrev_b64 v[20:21], 4, v[20:21]
	v_add_co_ci_u32_e64 v27, s0, 0, v1, s0
	v_add_co_u32 v30, s0, 0x4000, v0
	s_delay_alu instid0(VALU_DEP_1) | instskip(NEXT) | instid1(VALU_DEP_4)
	v_add_co_ci_u32_e64 v31, s0, 0, v1, s0
	v_add_co_u32 v34, s0, v2, v20
	s_delay_alu instid0(VALU_DEP_1) | instskip(SKIP_1) | instid1(VALU_DEP_1)
	v_add_co_ci_u32_e64 v35, s0, v3, v21, s0
	v_add_co_u32 v38, s0, 0x5000, v0
	v_add_co_ci_u32_e64 v39, s0, 0, v1, s0
	v_add_co_u32 v46, s0, 0x6000, v0
	v_or_b32_e32 v60, 0xa00, v4
	v_mov_b32_e32 v61, v5
	v_add_co_ci_u32_e64 v47, s0, 0, v1, s0
	v_add_co_u32 v50, s0, 0x7000, v0
	s_delay_alu instid0(VALU_DEP_1) | instskip(SKIP_4) | instid1(VALU_DEP_1)
	v_add_co_ci_u32_e64 v51, s0, 0, v1, s0
	v_add_co_u32 v58, s0, 0x8000, v0
	v_lshlrev_b64 v[60:61], 4, v[60:61]
	v_add_co_ci_u32_e64 v59, s0, 0, v1, s0
	v_add_co_u32 v64, s0, 0x9000, v0
	v_add_co_ci_u32_e64 v65, s0, 0, v1, s0
	s_delay_alu instid0(VALU_DEP_4) | instskip(NEXT) | instid1(VALU_DEP_1)
	v_add_co_u32 v68, s0, v2, v60
	v_add_co_ci_u32_e64 v69, s0, v3, v61, s0
	v_add_co_u32 v72, s0, 0xa000, v0
	s_delay_alu instid0(VALU_DEP_1) | instskip(SKIP_1) | instid1(VALU_DEP_1)
	v_add_co_ci_u32_e64 v73, s0, 0, v1, s0
	v_add_co_u32 v84, s0, 0xb000, v0
	v_add_co_ci_u32_e64 v85, s0, 0, v1, s0
	s_clause 0x13
	global_load_b128 v[6:9], v[0:1], off offset:2560
	global_load_b128 v[10:13], v[14:15], off offset:1024
	;; [unrolled: 1-line block ×7, first 2 shown]
	global_load_b128 v[34:37], v[34:35], off
	global_load_b128 v[38:41], v[38:39], off offset:2560
	global_load_b128 v[42:45], v[46:47], off offset:1024
	;; [unrolled: 1-line block ×7, first 2 shown]
	global_load_b128 v[68:71], v[68:69], off
	global_load_b128 v[72:75], v[72:73], off offset:2560
	global_load_b128 v[76:79], v[84:85], off offset:1024
	global_load_b128 v[80:83], v[0:1], off
	global_load_b128 v[84:87], v[84:85], off offset:3584
	v_mov_b32_e32 v0, v4
	v_lshl_add_u32 v88, v4, 4, 0
	v_cmp_eq_u32_e64 s0, 0x9f, v4
	v_mov_b32_e32 v1, v5
	s_waitcnt vmcnt(19)
	ds_store_b128 v88, v[6:9] offset:2560
	s_waitcnt vmcnt(18)
	ds_store_b128 v88, v[10:13] offset:5120
	;; [unrolled: 2-line block ×18, first 2 shown]
	s_waitcnt vmcnt(1)
	ds_store_b128 v88, v[80:83]
	s_waitcnt vmcnt(0)
	ds_store_b128 v88, v[84:87] offset:48640
	s_and_saveexec_b32 s2, s0
	s_cbranch_execz .LBB0_12
; %bb.11:
	v_add_co_u32 v0, s0, 0xc000, v2
	s_delay_alu instid0(VALU_DEP_1)
	v_add_co_ci_u32_e64 v1, s0, 0, v3, s0
	v_mov_b32_e32 v2, 0
	v_mov_b32_e32 v4, 0x9f
	global_load_b128 v[5:8], v[0:1], off offset:2048
	v_mov_b32_e32 v0, 0x9f
	v_mov_b32_e32 v1, 0
	s_waitcnt vmcnt(0)
	ds_store_b128 v2, v[5:8] offset:51200
.LBB0_12:
	s_or_b32 exec_lo, exec_lo, s2
	v_dual_mov_b32 v60, v4 :: v_dual_mov_b32 v5, v1
	v_mov_b32_e32 v4, v0
.LBB0_13:
	s_or_b32 exec_lo, exec_lo, s1
	s_delay_alu instid0(VALU_DEP_2)
	v_lshlrev_b32_e32 v0, 4, v60
	s_waitcnt lgkmcnt(0)
	s_barrier
	buffer_gl0_inv
	v_lshlrev_b64 v[64:65], 4, v[4:5]
	v_add_nc_u32_e32 v154, 0, v0
	v_sub_nc_u32_e32 v10, 0, v0
	s_add_u32 s1, s4, 0xc760
	s_addc_u32 s2, s5, 0
	s_mov_b32 s3, exec_lo
	ds_load_b64 v[6:7], v154
	ds_load_b64 v[8:9], v10 offset:51200
	s_waitcnt lgkmcnt(0)
	v_add_f64 v[0:1], v[6:7], v[8:9]
	v_add_f64 v[2:3], v[6:7], -v[8:9]
	v_cmpx_ne_u32_e32 0, v60
	s_xor_b32 s3, exec_lo, s3
	s_cbranch_execz .LBB0_15
; %bb.14:
	v_add_co_u32 v0, s0, s1, v64
	s_delay_alu instid0(VALU_DEP_1)
	v_add_co_ci_u32_e64 v1, s0, s2, v65, s0
	v_add_f64 v[13:14], v[6:7], v[8:9]
	v_add_f64 v[8:9], v[6:7], -v[8:9]
	global_load_b128 v[2:5], v[0:1], off
	ds_load_b64 v[0:1], v10 offset:51208
	ds_load_b64 v[11:12], v154 offset:8
	s_waitcnt lgkmcnt(0)
	v_add_f64 v[6:7], v[0:1], v[11:12]
	v_add_f64 v[0:1], v[11:12], -v[0:1]
	s_waitcnt vmcnt(0)
	v_fma_f64 v[11:12], v[8:9], v[4:5], v[13:14]
	v_fma_f64 v[13:14], -v[8:9], v[4:5], v[13:14]
	s_delay_alu instid0(VALU_DEP_3) | instskip(SKIP_1) | instid1(VALU_DEP_4)
	v_fma_f64 v[15:16], v[6:7], v[4:5], -v[0:1]
	v_fma_f64 v[17:18], v[6:7], v[4:5], v[0:1]
	v_fma_f64 v[0:1], -v[6:7], v[2:3], v[11:12]
	s_delay_alu instid0(VALU_DEP_4) | instskip(NEXT) | instid1(VALU_DEP_4)
	v_fma_f64 v[4:5], v[6:7], v[2:3], v[13:14]
	v_fma_f64 v[6:7], v[8:9], v[2:3], v[15:16]
	s_delay_alu instid0(VALU_DEP_4)
	v_fma_f64 v[2:3], v[8:9], v[2:3], v[17:18]
	ds_store_b128 v10, v[4:7] offset:51200
.LBB0_15:
	s_and_not1_saveexec_b32 s0, s3
	s_cbranch_execz .LBB0_17
; %bb.16:
	v_mov_b32_e32 v8, 0
	ds_load_b128 v[4:7], v8 offset:25600
	s_waitcnt lgkmcnt(0)
	v_add_f64 v[4:5], v[4:5], v[4:5]
	v_mul_f64 v[6:7], v[6:7], -2.0
	ds_store_b128 v8, v[4:7] offset:25600
.LBB0_17:
	s_or_b32 exec_lo, exec_lo, s0
	v_mov_b32_e32 v61, 0
	ds_store_b128 v154, v[0:3]
	s_mov_b32 s7, 0xbfee6f0e
	s_mov_b32 s10, 0x4755a5e
	;; [unrolled: 1-line block ×3, first 2 shown]
	v_lshlrev_b64 v[66:67], 4, v[60:61]
	s_mov_b32 s13, 0xbfe2cf23
	s_mov_b32 s12, s10
	;; [unrolled: 1-line block ×5, first 2 shown]
	v_add_co_u32 v4, s0, s1, v66
	s_delay_alu instid0(VALU_DEP_1) | instskip(SKIP_1) | instid1(VALU_DEP_2)
	v_add_co_ci_u32_e64 v5, s0, s2, v67, s0
	s_mov_b32 s17, 0x3fe9e377
	v_add_co_u32 v19, s0, 0x1000, v4
	global_load_b128 v[6:9], v[4:5], off offset:2560
	v_add_co_ci_u32_e64 v20, s0, 0, v5, s0
	global_load_b128 v[11:14], v[19:20], off offset:1024
	ds_load_b128 v[0:3], v154 offset:2560
	ds_load_b128 v[15:18], v10 offset:48640
	global_load_b128 v[19:22], v[19:20], off offset:3584
	s_waitcnt lgkmcnt(0)
	v_add_f64 v[23:24], v[0:1], v[15:16]
	v_add_f64 v[25:26], v[17:18], v[2:3]
	v_add_f64 v[27:28], v[0:1], -v[15:16]
	v_add_f64 v[0:1], v[2:3], -v[17:18]
	s_waitcnt vmcnt(2)
	s_delay_alu instid0(VALU_DEP_2) | instskip(NEXT) | instid1(VALU_DEP_2)
	v_fma_f64 v[2:3], v[27:28], v[8:9], v[23:24]
	v_fma_f64 v[15:16], v[25:26], v[8:9], v[0:1]
	v_fma_f64 v[17:18], -v[27:28], v[8:9], v[23:24]
	v_fma_f64 v[8:9], v[25:26], v[8:9], -v[0:1]
	s_delay_alu instid0(VALU_DEP_4) | instskip(NEXT) | instid1(VALU_DEP_4)
	v_fma_f64 v[0:1], -v[25:26], v[6:7], v[2:3]
	v_fma_f64 v[2:3], v[27:28], v[6:7], v[15:16]
	s_delay_alu instid0(VALU_DEP_4) | instskip(NEXT) | instid1(VALU_DEP_4)
	v_fma_f64 v[15:16], v[25:26], v[6:7], v[17:18]
	v_fma_f64 v[17:18], v[27:28], v[6:7], v[8:9]
	ds_store_b128 v154, v[0:3] offset:2560
	ds_store_b128 v10, v[15:18] offset:48640
	ds_load_b128 v[0:3], v154 offset:5120
	ds_load_b128 v[6:9], v10 offset:46080
	v_add_co_u32 v15, s0, 0x2000, v4
	s_delay_alu instid0(VALU_DEP_1)
	v_add_co_ci_u32_e64 v16, s0, 0, v5, s0
	global_load_b128 v[15:18], v[15:16], off offset:2048
	s_waitcnt lgkmcnt(0)
	v_add_f64 v[23:24], v[0:1], v[6:7]
	v_add_f64 v[25:26], v[8:9], v[2:3]
	v_add_f64 v[27:28], v[0:1], -v[6:7]
	v_add_f64 v[0:1], v[2:3], -v[8:9]
	s_waitcnt vmcnt(2)
	s_delay_alu instid0(VALU_DEP_2) | instskip(NEXT) | instid1(VALU_DEP_2)
	v_fma_f64 v[2:3], v[27:28], v[13:14], v[23:24]
	v_fma_f64 v[6:7], v[25:26], v[13:14], v[0:1]
	v_fma_f64 v[8:9], -v[27:28], v[13:14], v[23:24]
	v_fma_f64 v[13:14], v[25:26], v[13:14], -v[0:1]
	v_add_co_u32 v23, s0, 0x3000, v4
	s_delay_alu instid0(VALU_DEP_1)
	v_add_co_ci_u32_e64 v24, s0, 0, v5, s0
	v_fma_f64 v[0:1], -v[25:26], v[11:12], v[2:3]
	v_fma_f64 v[2:3], v[27:28], v[11:12], v[6:7]
	v_fma_f64 v[6:7], v[25:26], v[11:12], v[8:9]
	;; [unrolled: 1-line block ×3, first 2 shown]
	ds_store_b128 v154, v[0:3] offset:5120
	ds_store_b128 v10, v[6:9] offset:46080
	ds_load_b128 v[0:3], v154 offset:7680
	ds_load_b128 v[6:9], v10 offset:43520
	global_load_b128 v[11:14], v[23:24], off offset:512
	s_waitcnt lgkmcnt(0)
	v_add_f64 v[25:26], v[0:1], v[6:7]
	v_add_f64 v[27:28], v[8:9], v[2:3]
	v_add_f64 v[29:30], v[0:1], -v[6:7]
	v_add_f64 v[0:1], v[2:3], -v[8:9]
	s_waitcnt vmcnt(2)
	s_delay_alu instid0(VALU_DEP_2) | instskip(NEXT) | instid1(VALU_DEP_2)
	v_fma_f64 v[2:3], v[29:30], v[21:22], v[25:26]
	v_fma_f64 v[6:7], v[27:28], v[21:22], v[0:1]
	v_fma_f64 v[8:9], -v[29:30], v[21:22], v[25:26]
	v_fma_f64 v[21:22], v[27:28], v[21:22], -v[0:1]
	s_delay_alu instid0(VALU_DEP_4) | instskip(NEXT) | instid1(VALU_DEP_4)
	v_fma_f64 v[0:1], -v[27:28], v[19:20], v[2:3]
	v_fma_f64 v[2:3], v[29:30], v[19:20], v[6:7]
	s_delay_alu instid0(VALU_DEP_4) | instskip(NEXT) | instid1(VALU_DEP_4)
	v_fma_f64 v[6:7], v[27:28], v[19:20], v[8:9]
	v_fma_f64 v[8:9], v[29:30], v[19:20], v[21:22]
	ds_store_b128 v154, v[0:3] offset:7680
	ds_store_b128 v10, v[6:9] offset:43520
	ds_load_b128 v[0:3], v154 offset:10240
	ds_load_b128 v[6:9], v10 offset:40960
	global_load_b128 v[19:22], v[23:24], off offset:3072
	s_waitcnt lgkmcnt(0)
	v_add_f64 v[23:24], v[0:1], v[6:7]
	v_add_f64 v[25:26], v[8:9], v[2:3]
	v_add_f64 v[27:28], v[0:1], -v[6:7]
	v_add_f64 v[0:1], v[2:3], -v[8:9]
	s_waitcnt vmcnt(2)
	s_delay_alu instid0(VALU_DEP_2) | instskip(NEXT) | instid1(VALU_DEP_2)
	v_fma_f64 v[2:3], v[27:28], v[17:18], v[23:24]
	v_fma_f64 v[6:7], v[25:26], v[17:18], v[0:1]
	v_fma_f64 v[8:9], -v[27:28], v[17:18], v[23:24]
	v_fma_f64 v[17:18], v[25:26], v[17:18], -v[0:1]
	s_delay_alu instid0(VALU_DEP_4) | instskip(NEXT) | instid1(VALU_DEP_4)
	v_fma_f64 v[0:1], -v[25:26], v[15:16], v[2:3]
	v_fma_f64 v[2:3], v[27:28], v[15:16], v[6:7]
	s_delay_alu instid0(VALU_DEP_4) | instskip(NEXT) | instid1(VALU_DEP_4)
	v_fma_f64 v[6:7], v[25:26], v[15:16], v[8:9]
	v_fma_f64 v[8:9], v[27:28], v[15:16], v[17:18]
	v_add_co_u32 v15, s0, 0x4000, v4
	s_delay_alu instid0(VALU_DEP_1)
	v_add_co_ci_u32_e64 v16, s0, 0, v5, s0
	ds_store_b128 v154, v[0:3] offset:10240
	ds_store_b128 v10, v[6:9] offset:40960
	ds_load_b128 v[0:3], v154 offset:12800
	ds_load_b128 v[6:9], v10 offset:38400
	global_load_b128 v[15:18], v[15:16], off offset:1536
	s_waitcnt lgkmcnt(0)
	v_add_f64 v[23:24], v[0:1], v[6:7]
	v_add_f64 v[25:26], v[8:9], v[2:3]
	v_add_f64 v[27:28], v[0:1], -v[6:7]
	v_add_f64 v[0:1], v[2:3], -v[8:9]
	s_waitcnt vmcnt(2)
	s_delay_alu instid0(VALU_DEP_2) | instskip(NEXT) | instid1(VALU_DEP_2)
	v_fma_f64 v[2:3], v[27:28], v[13:14], v[23:24]
	v_fma_f64 v[6:7], v[25:26], v[13:14], v[0:1]
	v_fma_f64 v[8:9], -v[27:28], v[13:14], v[23:24]
	v_fma_f64 v[13:14], v[25:26], v[13:14], -v[0:1]
	s_delay_alu instid0(VALU_DEP_4) | instskip(NEXT) | instid1(VALU_DEP_4)
	v_fma_f64 v[0:1], -v[25:26], v[11:12], v[2:3]
	v_fma_f64 v[2:3], v[27:28], v[11:12], v[6:7]
	s_delay_alu instid0(VALU_DEP_4) | instskip(NEXT) | instid1(VALU_DEP_4)
	v_fma_f64 v[6:7], v[25:26], v[11:12], v[8:9]
	v_fma_f64 v[8:9], v[27:28], v[11:12], v[13:14]
	v_or_b32_e32 v11, 0x500, v60
	v_mov_b32_e32 v12, v61
	ds_store_b128 v154, v[0:3] offset:12800
	ds_store_b128 v10, v[6:9] offset:38400
	v_lshlrev_b64 v[68:69], 4, v[11:12]
	ds_load_b128 v[0:3], v154 offset:15360
	ds_load_b128 v[6:9], v10 offset:35840
	v_add_co_u32 v11, s0, s1, v68
	s_delay_alu instid0(VALU_DEP_1) | instskip(SKIP_1) | instid1(VALU_DEP_1)
	v_add_co_ci_u32_e64 v12, s0, s2, v69, s0
	v_add_co_u32 v4, s0, 0x5000, v4
	v_add_co_ci_u32_e64 v5, s0, 0, v5, s0
	global_load_b128 v[11:14], v[11:12], off
	s_mov_b32 s2, 0x134454ff
	s_mov_b32 s3, 0x3fee6f0e
	;; [unrolled: 1-line block ×3, first 2 shown]
	v_cmp_gt_u32_e64 s0, 0x64, v60
	s_waitcnt lgkmcnt(0)
	v_add_f64 v[23:24], v[0:1], v[6:7]
	v_add_f64 v[25:26], v[8:9], v[2:3]
	v_add_f64 v[27:28], v[0:1], -v[6:7]
	v_add_f64 v[0:1], v[2:3], -v[8:9]
	s_waitcnt vmcnt(2)
	s_delay_alu instid0(VALU_DEP_2) | instskip(NEXT) | instid1(VALU_DEP_2)
	v_fma_f64 v[2:3], v[27:28], v[21:22], v[23:24]
	v_fma_f64 v[6:7], v[25:26], v[21:22], v[0:1]
	v_fma_f64 v[8:9], -v[27:28], v[21:22], v[23:24]
	v_fma_f64 v[21:22], v[25:26], v[21:22], -v[0:1]
	s_delay_alu instid0(VALU_DEP_4) | instskip(NEXT) | instid1(VALU_DEP_4)
	v_fma_f64 v[0:1], -v[25:26], v[19:20], v[2:3]
	v_fma_f64 v[2:3], v[27:28], v[19:20], v[6:7]
	s_delay_alu instid0(VALU_DEP_4) | instskip(NEXT) | instid1(VALU_DEP_4)
	v_fma_f64 v[6:7], v[25:26], v[19:20], v[8:9]
	v_fma_f64 v[8:9], v[27:28], v[19:20], v[21:22]
	ds_store_b128 v154, v[0:3] offset:15360
	ds_store_b128 v10, v[6:9] offset:35840
	ds_load_b128 v[0:3], v154 offset:17920
	ds_load_b128 v[6:9], v10 offset:33280
	global_load_b128 v[19:22], v[4:5], off offset:2560
	s_waitcnt lgkmcnt(0)
	v_add_f64 v[4:5], v[0:1], v[6:7]
	v_add_f64 v[23:24], v[8:9], v[2:3]
	v_add_f64 v[6:7], v[0:1], -v[6:7]
	v_add_f64 v[0:1], v[2:3], -v[8:9]
	s_waitcnt vmcnt(2)
	s_delay_alu instid0(VALU_DEP_2) | instskip(NEXT) | instid1(VALU_DEP_2)
	v_fma_f64 v[2:3], v[6:7], v[17:18], v[4:5]
	v_fma_f64 v[8:9], v[23:24], v[17:18], v[0:1]
	v_fma_f64 v[4:5], -v[6:7], v[17:18], v[4:5]
	v_fma_f64 v[17:18], v[23:24], v[17:18], -v[0:1]
	s_delay_alu instid0(VALU_DEP_4) | instskip(NEXT) | instid1(VALU_DEP_4)
	v_fma_f64 v[0:1], -v[23:24], v[15:16], v[2:3]
	v_fma_f64 v[2:3], v[6:7], v[15:16], v[8:9]
	s_delay_alu instid0(VALU_DEP_4) | instskip(NEXT) | instid1(VALU_DEP_4)
	v_fma_f64 v[4:5], v[23:24], v[15:16], v[4:5]
	v_fma_f64 v[6:7], v[6:7], v[15:16], v[17:18]
	ds_store_b128 v154, v[0:3] offset:17920
	ds_store_b128 v10, v[4:7] offset:33280
	ds_load_b128 v[0:3], v154 offset:20480
	ds_load_b128 v[4:7], v10 offset:30720
	s_waitcnt lgkmcnt(0)
	v_add_f64 v[8:9], v[0:1], v[4:5]
	v_add_f64 v[15:16], v[6:7], v[2:3]
	v_add_f64 v[17:18], v[0:1], -v[4:5]
	v_add_f64 v[0:1], v[2:3], -v[6:7]
	s_waitcnt vmcnt(1)
	s_delay_alu instid0(VALU_DEP_2) | instskip(NEXT) | instid1(VALU_DEP_2)
	v_fma_f64 v[2:3], v[17:18], v[13:14], v[8:9]
	v_fma_f64 v[4:5], v[15:16], v[13:14], v[0:1]
	v_fma_f64 v[6:7], -v[17:18], v[13:14], v[8:9]
	v_fma_f64 v[8:9], v[15:16], v[13:14], -v[0:1]
	s_delay_alu instid0(VALU_DEP_4) | instskip(NEXT) | instid1(VALU_DEP_4)
	v_fma_f64 v[0:1], -v[15:16], v[11:12], v[2:3]
	v_fma_f64 v[2:3], v[17:18], v[11:12], v[4:5]
	s_delay_alu instid0(VALU_DEP_4) | instskip(NEXT) | instid1(VALU_DEP_4)
	v_fma_f64 v[4:5], v[15:16], v[11:12], v[6:7]
	v_fma_f64 v[6:7], v[17:18], v[11:12], v[8:9]
	ds_store_b128 v154, v[0:3] offset:20480
	ds_store_b128 v10, v[4:7] offset:30720
	ds_load_b128 v[0:3], v154 offset:23040
	ds_load_b128 v[4:7], v10 offset:28160
	s_waitcnt lgkmcnt(0)
	v_add_f64 v[8:9], v[0:1], v[4:5]
	v_add_f64 v[11:12], v[6:7], v[2:3]
	v_add_f64 v[13:14], v[0:1], -v[4:5]
	v_add_f64 v[0:1], v[2:3], -v[6:7]
	s_waitcnt vmcnt(0)
	s_delay_alu instid0(VALU_DEP_2) | instskip(NEXT) | instid1(VALU_DEP_2)
	v_fma_f64 v[2:3], v[13:14], v[21:22], v[8:9]
	v_fma_f64 v[4:5], v[11:12], v[21:22], v[0:1]
	v_fma_f64 v[6:7], -v[13:14], v[21:22], v[8:9]
	v_fma_f64 v[8:9], v[11:12], v[21:22], -v[0:1]
	s_delay_alu instid0(VALU_DEP_4) | instskip(NEXT) | instid1(VALU_DEP_4)
	v_fma_f64 v[0:1], -v[11:12], v[19:20], v[2:3]
	v_fma_f64 v[2:3], v[13:14], v[19:20], v[4:5]
	s_delay_alu instid0(VALU_DEP_4) | instskip(NEXT) | instid1(VALU_DEP_4)
	v_fma_f64 v[4:5], v[11:12], v[19:20], v[6:7]
	v_fma_f64 v[6:7], v[13:14], v[19:20], v[8:9]
	ds_store_b128 v154, v[0:3] offset:23040
	ds_store_b128 v10, v[4:7] offset:28160
	s_waitcnt lgkmcnt(0)
	s_barrier
	buffer_gl0_inv
	s_barrier
	buffer_gl0_inv
	ds_load_b128 v[32:35], v154
	ds_load_b128 v[52:55], v154 offset:10240
	ds_load_b128 v[80:83], v154 offset:20480
	ds_load_b128 v[8:11], v154 offset:30720
	ds_load_b128 v[4:7], v154 offset:40960
	ds_load_b128 v[36:39], v154 offset:7680
	ds_load_b128 v[0:3], v154 offset:48640
	ds_load_b128 v[88:91], v154 offset:15360
	ds_load_b128 v[56:59], v154 offset:5120
	ds_load_b128 v[40:43], v154 offset:17920
	ds_load_b128 v[44:47], v154 offset:28160
	ds_load_b128 v[48:51], v154 offset:2560
	ds_load_b128 v[98:101], v154 offset:25600
	ds_load_b128 v[24:27], v154 offset:35840
	ds_load_b128 v[12:15], v154 offset:46080
	ds_load_b128 v[102:105], v154 offset:12800
	ds_load_b128 v[20:23], v154 offset:38400
	ds_load_b128 v[108:111], v154 offset:23040
	ds_load_b128 v[28:31], v154 offset:33280
	ds_load_b128 v[16:19], v154 offset:43520
	s_waitcnt lgkmcnt(0)
	v_add_f64 v[86:87], v[34:35], v[54:55]
	v_add_f64 v[76:77], v[32:33], v[52:53]
	;; [unrolled: 1-line block ×6, first 2 shown]
	v_add_f64 v[122:123], v[52:53], -v[80:81]
	v_add_f64 v[118:119], v[58:59], v[90:91]
	v_add_f64 v[116:117], v[56:57], v[88:89]
	v_add_f64 v[126:127], v[4:5], -v[8:9]
	v_add_f64 v[167:168], v[40:41], v[0:1]
	v_add_f64 v[72:73], v[54:55], -v[6:7]
	v_add_f64 v[128:129], v[100:101], v[26:27]
	v_add_f64 v[124:125], v[88:89], v[12:13]
	;; [unrolled: 1-line block ×11, first 2 shown]
	v_add_f64 v[70:71], v[82:83], -v[10:11]
	v_add_f64 v[136:137], v[54:55], -v[82:83]
	;; [unrolled: 1-line block ×6, first 2 shown]
	v_add_f64 v[171:172], v[42:43], v[2:3]
	v_add_f64 v[175:176], v[38:39], v[42:43]
	v_add_f64 v[177:178], v[90:91], -v[100:101]
	v_add_f64 v[179:180], v[100:101], -v[90:91]
	v_add_f64 v[94:95], v[88:89], -v[12:13]
	v_add_f64 v[181:182], v[102:103], -v[108:109]
	v_add_f64 v[140:141], v[108:109], -v[102:103]
	v_add_f64 v[159:160], v[6:7], -v[10:11]
	v_add_f64 v[169:170], v[46:47], v[22:23]
	v_add_f64 v[86:87], v[86:87], v[82:83]
	v_add_f64 v[134:135], v[80:81], -v[52:53]
	v_fma_f64 v[82:83], v[92:93], -0.5, v[32:33]
	v_fma_f64 v[88:89], v[106:107], -0.5, v[32:33]
	v_add_f64 v[32:33], v[108:109], -v[28:29]
	v_add_f64 v[74:75], v[80:81], -v[8:9]
	v_add_f64 v[173:174], v[36:37], v[40:41]
	v_add_f64 v[92:93], v[118:119], v[100:101]
	v_add_f64 v[118:119], v[42:43], -v[2:3]
	v_add_f64 v[78:79], v[98:99], -v[24:25]
	v_add_f64 v[84:85], v[76:77], v[80:81]
	v_add_f64 v[96:97], v[90:91], -v[14:15]
	v_fma_f64 v[80:81], v[112:113], -0.5, v[34:35]
	v_fma_f64 v[34:35], v[114:115], -0.5, v[34:35]
	v_add_f64 v[108:109], v[152:153], v[108:109]
	v_add_f64 v[152:153], v[42:43], -v[46:47]
	v_add_f64 v[90:91], v[116:117], v[98:99]
	v_add_f64 v[183:184], v[12:13], -v[24:25]
	v_fma_f64 v[100:101], v[150:151], -0.5, v[50:51]
	v_add_f64 v[150:151], v[46:47], -v[42:43]
	v_add_f64 v[42:43], v[10:11], -v[6:7]
	v_fma_f64 v[146:147], v[124:125], -0.5, v[56:57]
	v_fma_f64 v[114:115], v[128:129], -0.5, v[58:59]
	;; [unrolled: 1-line block ×5, first 2 shown]
	v_add_f64 v[138:139], v[40:41], -v[44:45]
	v_add_f64 v[148:149], v[44:45], -v[40:41]
	v_fma_f64 v[124:125], v[165:166], -0.5, v[36:37]
	v_and_b32_e32 v165, 0xff, v60
	v_fma_f64 v[128:129], v[167:168], -0.5, v[36:37]
	v_add_f64 v[116:117], v[40:41], -v[0:1]
	v_add_f64 v[40:41], v[8:9], -v[4:5]
	v_add_f64 v[36:37], v[122:123], v[126:127]
	v_add_f64 v[122:123], v[24:25], -v[12:13]
	v_fma_f64 v[142:143], v[120:121], -0.5, v[56:57]
	v_add_f64 v[185:186], v[104:105], -v[110:111]
	v_fma_f64 v[56:57], v[132:133], -0.5, v[48:49]
	v_add_f64 v[130:131], v[110:111], -v[104:105]
	v_add_f64 v[48:49], v[104:105], -v[18:19]
	v_add_f64 v[104:105], v[157:158], v[110:111]
	v_add_f64 v[157:158], v[16:17], -v[28:29]
	v_fma_f64 v[120:121], v[169:170], -0.5, v[38:39]
	v_fma_f64 v[132:133], v[171:172], -0.5, v[38:39]
	v_add_f64 v[38:39], v[136:137], v[159:160]
	v_add_f64 v[126:127], v[26:27], -v[14:15]
	v_add_f64 v[159:160], v[18:19], -v[30:31]
	;; [unrolled: 1-line block ×8, first 2 shown]
	v_add_f64 v[102:103], v[175:176], v[46:47]
	v_mul_lo_u16 v167, 0xcd, v165
	v_add_f64 v[110:111], v[161:162], v[183:184]
	v_add_f64 v[161:162], v[2:3], -v[22:23]
	v_add_f64 v[44:45], v[173:174], v[44:45]
	v_add_f64 v[42:43], v[155:156], v[42:43]
	v_add_f64 v[155:156], v[0:1], -v[20:21]
	v_add_f64 v[8:9], v[84:85], v[8:9]
	v_add_f64 v[10:11], v[86:87], v[10:11]
	;; [unrolled: 1-line block ×3, first 2 shown]
	v_fma_f64 v[84:85], v[72:73], s[2:3], v[82:83]
	v_fma_f64 v[90:91], v[70:71], s[6:7], v[88:89]
	v_add_f64 v[26:27], v[92:93], v[26:27]
	v_fma_f64 v[92:93], v[74:75], s[2:3], v[34:35]
	v_fma_f64 v[34:35], v[74:75], s[6:7], v[34:35]
	;; [unrolled: 1-line block ×4, first 2 shown]
	v_add_f64 v[40:41], v[134:135], v[40:41]
	s_barrier
	v_add_f64 v[134:135], v[163:164], v[122:123]
	v_add_f64 v[163:164], v[28:29], -v[16:17]
	v_add_f64 v[28:29], v[108:109], v[28:29]
	buffer_gl0_inv
	v_add_f64 v[122:123], v[181:182], v[157:158]
	v_add_f64 v[157:158], v[20:21], -v[0:1]
	v_add_f64 v[136:137], v[179:180], v[126:127]
	v_add_f64 v[126:127], v[185:186], v[159:160]
	v_add_f64 v[159:160], v[22:23], -v[2:3]
	v_add_f64 v[46:47], v[177:178], v[187:188]
	v_fma_f64 v[86:87], v[52:53], s[6:7], v[80:81]
	v_fma_f64 v[80:81], v[52:53], s[2:3], v[80:81]
	v_add_f64 v[22:23], v[102:103], v[22:23]
	v_add_f64 v[152:153], v[152:153], v[161:162]
	v_fma_f64 v[161:162], v[54:55], s[6:7], v[146:147]
	v_fma_f64 v[146:147], v[54:55], s[2:3], v[146:147]
	v_add_f64 v[138:139], v[138:139], v[155:156]
	v_add_f64 v[155:156], v[30:31], -v[18:19]
	v_add_f64 v[30:31], v[104:105], v[30:31]
	v_add_f64 v[20:21], v[44:45], v[20:21]
	;; [unrolled: 1-line block ×4, first 2 shown]
	v_fma_f64 v[8:9], v[70:71], s[10:11], v[84:85]
	v_fma_f64 v[44:45], v[72:73], s[10:11], v[90:91]
	;; [unrolled: 1-line block ×6, first 2 shown]
	v_add_f64 v[12:13], v[24:25], v[12:13]
	v_add_f64 v[14:15], v[26:27], v[14:15]
	;; [unrolled: 1-line block ×3, first 2 shown]
	v_fma_f64 v[163:164], v[78:79], s[2:3], v[144:145]
	v_fma_f64 v[144:145], v[78:79], s[6:7], v[144:145]
	v_add_f64 v[16:17], v[28:29], v[16:17]
	v_add_f64 v[148:149], v[148:149], v[157:158]
	v_fma_f64 v[157:158], v[96:97], s[2:3], v[142:143]
	v_fma_f64 v[142:143], v[96:97], s[6:7], v[142:143]
	v_add_f64 v[150:151], v[150:151], v[159:160]
	v_fma_f64 v[159:160], v[118:119], s[2:3], v[124:125]
	v_fma_f64 v[124:125], v[118:119], s[6:7], v[124:125]
	;; [unrolled: 1-line block ×4, first 2 shown]
	v_add_f64 v[22:23], v[22:23], v[2:3]
	v_fma_f64 v[161:162], v[96:97], s[10:11], v[161:162]
	v_fma_f64 v[96:97], v[96:97], s[12:13], v[146:147]
	;; [unrolled: 1-line block ×3, first 2 shown]
	v_add_f64 v[130:131], v[130:131], v[155:156]
	v_fma_f64 v[155:156], v[94:95], s[2:3], v[114:115]
	v_fma_f64 v[114:115], v[94:95], s[6:7], v[114:115]
	v_fma_f64 v[128:129], v[112:113], s[2:3], v[128:129]
	v_add_f64 v[18:19], v[30:31], v[18:19]
	v_add_f64 v[20:21], v[20:21], v[0:1]
	v_fma_f64 v[24:25], v[36:37], s[14:15], v[8:9]
	v_fma_f64 v[28:29], v[40:41], s[14:15], v[44:45]
	v_fma_f64 v[30:31], v[42:43], s[14:15], v[84:85]
	v_fma_f64 v[42:43], v[42:43], s[14:15], v[34:35]
	v_fma_f64 v[40:41], v[40:41], s[14:15], v[72:73]
	v_fma_f64 v[52:53], v[36:37], s[14:15], v[52:53]
	v_add_f64 v[0:1], v[4:5], v[12:13]
	v_add_f64 v[2:3], v[6:7], v[14:15]
	v_fma_f64 v[163:164], v[94:95], s[12:13], v[163:164]
	v_fma_f64 v[94:95], v[94:95], s[10:11], v[144:145]
	;; [unrolled: 1-line block ×4, first 2 shown]
	v_add_f64 v[4:5], v[4:5], -v[12:13]
	v_add_f64 v[6:7], v[6:7], -v[14:15]
	v_fma_f64 v[157:158], v[54:55], s[10:11], v[157:158]
	v_fma_f64 v[54:55], v[54:55], s[12:13], v[142:143]
	;; [unrolled: 1-line block ×16, first 2 shown]
	v_add_f64 v[8:9], v[16:17], v[20:21]
	v_add_f64 v[10:11], v[18:19], v[22:23]
	v_add_f64 v[12:13], v[16:17], -v[20:21]
	v_add_f64 v[14:15], v[18:19], -v[22:23]
	v_lshrrev_b16 v155, 11, v167
	v_fma_f64 v[108:109], v[136:137], s[14:15], v[163:164]
	v_fma_f64 v[94:95], v[136:137], s[14:15], v[94:95]
	v_fma_f64 v[144:145], v[116:117], s[12:13], v[144:145]
	v_fma_f64 v[116:117], v[116:117], s[10:11], v[132:133]
	v_fma_f64 v[132:133], v[48:49], s[2:3], v[56:57]
	v_fma_f64 v[136:137], v[76:77], s[6:7], v[98:99]
	v_fma_f64 v[98:99], v[76:77], s[2:3], v[98:99]
	v_fma_f64 v[114:115], v[110:111], s[14:15], v[157:158]
	v_fma_f64 v[54:55], v[110:111], s[14:15], v[54:55]
	v_fma_f64 v[124:125], v[106:107], s[10:11], v[142:143]
	v_fma_f64 v[106:107], v[106:107], s[12:13], v[120:121]
	v_fma_f64 v[142:143], v[32:33], s[2:3], v[100:101]
	v_fma_f64 v[120:121], v[138:139], s[14:15], v[159:160]
	v_fma_f64 v[100:101], v[32:33], s[6:7], v[100:101]
	v_fma_f64 v[56:57], v[48:49], s[6:7], v[56:57]
	v_fma_f64 v[112:113], v[138:139], s[14:15], v[112:113]
	v_mul_lo_u16 v156, v155, 10
	v_mul_f64 v[88:89], v[96:97], s[14:15]
	v_fma_f64 v[110:111], v[46:47], s[14:15], v[165:166]
	v_fma_f64 v[46:47], v[46:47], s[14:15], v[78:79]
	;; [unrolled: 1-line block ×3, first 2 shown]
	v_mul_f64 v[82:83], v[128:129], s[6:7]
	v_fma_f64 v[92:93], v[32:33], s[12:13], v[134:135]
	v_fma_f64 v[32:33], v[32:33], s[10:11], v[58:59]
	v_mul_f64 v[70:71], v[108:109], s[2:3]
	v_mul_f64 v[90:91], v[94:95], s[14:15]
	v_fma_f64 v[104:105], v[150:151], s[14:15], v[144:145]
	v_fma_f64 v[144:145], v[148:149], s[14:15], v[146:147]
	;; [unrolled: 1-line block ×5, first 2 shown]
	v_mul_f64 v[78:79], v[114:115], s[16:17]
	v_mul_f64 v[86:87], v[114:115], s[12:13]
	v_fma_f64 v[124:125], v[152:153], s[14:15], v[124:125]
	v_mul_f64 v[114:115], v[54:55], s[16:17]
	v_fma_f64 v[106:107], v[152:153], s[14:15], v[106:107]
	v_mul_f64 v[136:137], v[120:121], s[16:17]
	v_mul_f64 v[120:121], v[120:121], s[12:13]
	v_fma_f64 v[134:135], v[50:51], s[12:13], v[142:143]
	v_fma_f64 v[48:49], v[48:49], s[12:13], v[98:99]
	v_fma_f64 v[50:51], v[50:51], s[10:11], v[100:101]
	v_fma_f64 v[56:57], v[76:77], s[12:13], v[56:57]
	v_mul_f64 v[138:139], v[112:113], s[16:17]
	v_fma_f64 v[36:37], v[94:95], s[2:3], -v[88:89]
	v_mul_f64 v[132:133], v[110:111], s[16:17]
	v_mul_f64 v[58:59], v[118:119], s[14:15]
	v_fma_f64 v[34:35], v[128:129], s[14:15], v[70:71]
	v_fma_f64 v[70:71], v[108:109], s[14:15], v[82:83]
	v_mul_f64 v[98:99], v[104:105], s[2:3]
	v_mul_f64 v[100:101], v[144:145], s[6:7]
	;; [unrolled: 1-line block ×3, first 2 shown]
	v_fma_f64 v[38:39], v[96:97], s[6:7], -v[90:91]
	v_fma_f64 v[74:75], v[122:123], s[14:15], v[80:81]
	v_fma_f64 v[44:45], v[46:47], s[10:11], v[78:79]
	;; [unrolled: 1-line block ×3, first 2 shown]
	v_mul_f64 v[142:143], v[124:125], s[16:17]
	v_fma_f64 v[80:81], v[110:111], s[10:11], -v[114:115]
	v_fma_f64 v[78:79], v[126:127], s[14:15], v[92:93]
	v_fma_f64 v[86:87], v[106:107], s[10:11], v[136:137]
	;; [unrolled: 1-line block ×7, first 2 shown]
	v_fma_f64 v[106:107], v[124:125], s[10:11], -v[138:139]
	v_sub_nc_u16 v110, v60, v156
	v_add_nc_u32_e32 v156, 0xa0, v60
	s_delay_alu instid0(VALU_DEP_2)
	v_and_b32_e32 v157, 0xff, v110
	v_fma_f64 v[54:55], v[54:55], s[12:13], -v[132:133]
	v_fma_f64 v[102:103], v[116:117], s[2:3], -v[58:59]
	v_fma_f64 v[94:95], v[144:145], s[14:15], v[98:99]
	v_fma_f64 v[96:97], v[104:105], s[14:15], v[100:101]
	v_fma_f64 v[104:105], v[118:119], s[6:7], -v[76:77]
	v_fma_f64 v[98:99], v[122:123], s[14:15], v[56:57]
	v_fma_f64 v[100:101], v[126:127], s[14:15], v[32:33]
	v_add_f64 v[16:17], v[24:25], v[44:45]
	v_add_f64 v[18:19], v[26:27], v[46:47]
	v_fma_f64 v[108:109], v[112:113], s[12:13], -v[142:143]
	v_add_f64 v[20:21], v[24:25], -v[44:45]
	v_add_f64 v[22:23], v[26:27], -v[46:47]
	v_add_f64 v[24:25], v[28:29], v[34:35]
	v_add_f64 v[26:27], v[30:31], v[70:71]
	v_add_f64 v[28:29], v[28:29], -v[34:35]
	v_add_f64 v[32:33], v[40:41], v[36:37]
	v_add_f64 v[34:35], v[42:43], v[38:39]
	v_add_f64 v[36:37], v[40:41], -v[36:37]
	v_add_f64 v[38:39], v[42:43], -v[38:39]
	v_add_f64 v[40:41], v[52:53], v[80:81]
	v_add_f64 v[30:31], v[30:31], -v[70:71]
	v_add_f64 v[44:45], v[52:53], -v[80:81]
	v_add_f64 v[48:49], v[74:75], v[86:87]
	v_add_f64 v[50:51], v[78:79], v[88:89]
	v_add_f64 v[52:53], v[74:75], -v[86:87]
	v_add_f64 v[42:43], v[72:73], v[54:55]
	v_add_f64 v[46:47], v[72:73], -v[54:55]
	;; [unrolled: 2-line block ×3, first 2 shown]
	v_add_f64 v[56:57], v[82:83], v[94:95]
	v_add_f64 v[58:59], v[84:85], v[96:97]
	;; [unrolled: 1-line block ×4, first 2 shown]
	v_add_f64 v[70:71], v[82:83], -v[94:95]
	v_add_f64 v[72:73], v[84:85], -v[96:97]
	;; [unrolled: 1-line block ×3, first 2 shown]
	v_add_f64 v[80:81], v[100:101], v[108:109]
	v_add_f64 v[84:85], v[92:93], -v[104:105]
	v_add_f64 v[86:87], v[98:99], -v[106:107]
	;; [unrolled: 1-line block ×3, first 2 shown]
	v_mul_u32_u24_e32 v91, 9, v157
	v_mad_u32_u24 v92, 0x90, v60, v154
	ds_store_b128 v92, v[0:3]
	ds_store_b128 v92, v[16:19] offset:16
	ds_store_b128 v92, v[24:27] offset:32
	;; [unrolled: 1-line block ×19, first 2 shown]
	v_lshlrev_b32_e32 v93, 4, v91
	s_waitcnt lgkmcnt(0)
	s_barrier
	buffer_gl0_inv
	v_and_b32_e32 v90, 0xffff, v156
	s_clause 0x4
	global_load_b128 v[8:11], v93, s[4:5] offset:16
	global_load_b128 v[12:15], v93, s[4:5] offset:32
	;; [unrolled: 1-line block ×5, first 2 shown]
	v_mul_u32_u24_e32 v90, 0xcccd, v90
	s_delay_alu instid0(VALU_DEP_1) | instskip(NEXT) | instid1(VALU_DEP_1)
	v_lshrrev_b32_e32 v158, 19, v90
	v_mul_lo_u16 v0, v158, 10
	s_delay_alu instid0(VALU_DEP_1) | instskip(NEXT) | instid1(VALU_DEP_1)
	v_sub_nc_u16 v0, v156, v0
	v_and_b32_e32 v159, 0xffff, v0
	s_delay_alu instid0(VALU_DEP_1) | instskip(NEXT) | instid1(VALU_DEP_1)
	v_mul_u32_u24_e32 v0, 9, v159
	v_lshlrev_b32_e32 v0, 4, v0
	s_clause 0xc
	global_load_b128 v[32:35], v0, s[4:5] offset:16
	global_load_b128 v[40:43], v0, s[4:5] offset:48
	;; [unrolled: 1-line block ×7, first 2 shown]
	global_load_b128 v[4:7], v93, s[4:5]
	global_load_b128 v[94:97], v0, s[4:5] offset:32
	global_load_b128 v[102:105], v0, s[4:5] offset:64
	;; [unrolled: 1-line block ×4, first 2 shown]
	global_load_b128 v[0:3], v0, s[4:5]
	ds_load_b128 v[36:39], v154 offset:10240
	ds_load_b128 v[52:55], v154 offset:15360
	;; [unrolled: 1-line block ×17, first 2 shown]
	s_waitcnt vmcnt(17) lgkmcnt(16)
	v_mul_f64 v[48:49], v[38:39], v[10:11]
	s_waitcnt vmcnt(16) lgkmcnt(15)
	v_mul_f64 v[86:87], v[54:55], v[14:15]
	v_mul_f64 v[14:15], v[52:53], v[14:15]
	s_waitcnt vmcnt(15) lgkmcnt(14)
	v_mul_f64 v[92:93], v[58:59], v[22:23]
	;; [unrolled: 3-line block ×3, first 2 shown]
	s_waitcnt vmcnt(13) lgkmcnt(10)
	v_mul_f64 v[168:169], v[120:121], v[30:31]
	v_mul_f64 v[30:31], v[118:119], v[30:31]
	;; [unrolled: 1-line block ×4, first 2 shown]
	s_waitcnt vmcnt(12)
	v_mul_f64 v[170:171], v[116:117], v[34:35]
	v_mul_f64 v[34:35], v[114:115], v[34:35]
	s_waitcnt vmcnt(11) lgkmcnt(8)
	v_mul_f64 v[172:173], v[128:129], v[42:43]
	v_mul_f64 v[42:43], v[126:127], v[42:43]
	s_waitcnt vmcnt(10) lgkmcnt(6)
	v_mul_f64 v[174:175], v[136:137], v[46:47]
	v_mul_f64 v[46:47], v[134:135], v[46:47]
	v_fma_f64 v[48:49], v[36:37], v[8:9], -v[48:49]
	v_fma_f64 v[86:87], v[52:53], v[12:13], -v[86:87]
	v_fma_f64 v[100:101], v[54:55], v[12:13], v[14:15]
	v_fma_f64 v[52:53], v[56:57], v[20:21], -v[92:93]
	v_fma_f64 v[54:55], v[58:59], v[20:21], v[22:23]
	s_waitcnt vmcnt(9) lgkmcnt(4)
	v_mul_f64 v[92:93], v[144:145], v[76:77]
	v_mul_f64 v[76:77], v[142:143], v[76:77]
	v_fma_f64 v[36:37], v[70:71], v[24:25], -v[98:99]
	s_waitcnt vmcnt(8) lgkmcnt(2)
	v_mul_f64 v[98:99], v[148:149], v[80:81]
	v_mul_f64 v[80:81], v[146:147], v[80:81]
	v_fma_f64 v[20:21], v[118:119], v[28:29], -v[168:169]
	v_fma_f64 v[22:23], v[120:121], v[28:29], v[30:31]
	ds_load_b128 v[118:121], v154 offset:48640
	s_waitcnt vmcnt(7)
	v_mul_f64 v[168:169], v[152:153], v[84:85]
	s_waitcnt vmcnt(6) lgkmcnt(1)
	v_mul_f64 v[176:177], v[162:163], v[90:91]
	v_fma_f64 v[50:51], v[38:39], v[8:9], v[10:11]
	v_fma_f64 v[38:39], v[72:73], v[24:25], v[26:27]
	v_mul_f64 v[84:85], v[150:151], v[84:85]
	ds_load_b128 v[8:11], v154 offset:2560
	ds_load_b128 v[12:15], v154
	s_waitcnt vmcnt(0) lgkmcnt(0)
	s_barrier
	buffer_gl0_inv
	v_fma_f64 v[56:57], v[114:115], v[32:33], -v[170:171]
	v_fma_f64 v[58:59], v[116:117], v[32:33], v[34:35]
	v_mul_f64 v[32:33], v[160:161], v[90:91]
	v_fma_f64 v[70:71], v[126:127], v[40:41], -v[172:173]
	v_fma_f64 v[72:73], v[128:129], v[40:41], v[42:43]
	v_mul_f64 v[34:35], v[166:167], v[6:7]
	v_mul_f64 v[40:41], v[124:125], v[96:97]
	;; [unrolled: 1-line block ×3, first 2 shown]
	v_fma_f64 v[28:29], v[134:135], v[44:45], -v[174:175]
	v_fma_f64 v[30:31], v[136:137], v[44:45], v[46:47]
	v_mul_f64 v[46:47], v[132:133], v[104:105]
	v_mul_f64 v[104:105], v[130:131], v[104:105]
	;; [unrolled: 1-line block ×5, first 2 shown]
	v_fma_f64 v[24:25], v[142:143], v[74:75], -v[92:93]
	v_fma_f64 v[26:27], v[144:145], v[74:75], v[76:77]
	v_mul_f64 v[74:75], v[120:121], v[112:113]
	v_mul_f64 v[76:77], v[118:119], v[112:113]
	v_fma_f64 v[112:113], v[146:147], v[78:79], -v[98:99]
	v_fma_f64 v[114:115], v[148:149], v[78:79], v[80:81]
	v_mul_f64 v[78:79], v[16:17], v[2:3]
	v_mul_f64 v[108:109], v[138:139], v[108:109]
	v_fma_f64 v[42:43], v[150:151], v[82:83], -v[168:169]
	v_fma_f64 v[2:3], v[160:161], v[88:89], -v[176:177]
	v_add_f64 v[148:149], v[12:13], v[48:49]
	v_add_f64 v[80:81], v[54:55], v[38:39]
	v_fma_f64 v[44:45], v[152:153], v[82:83], v[84:85]
	v_add_f64 v[134:135], v[38:39], -v[22:23]
	v_add_f64 v[160:161], v[14:15], v[50:51]
	v_fma_f64 v[6:7], v[162:163], v[88:89], v[32:33]
	v_add_f64 v[88:89], v[50:51], v[22:23]
	v_add_f64 v[162:163], v[8:9], v[56:57]
	v_fma_f64 v[92:93], v[164:165], v[4:5], -v[34:35]
	v_fma_f64 v[90:91], v[122:123], v[94:95], -v[40:41]
	v_fma_f64 v[98:99], v[124:125], v[94:95], v[96:97]
	v_add_f64 v[164:165], v[10:11], v[58:59]
	v_add_f64 v[170:171], v[58:59], -v[72:73]
	v_fma_f64 v[96:97], v[130:131], v[102:103], -v[46:47]
	v_fma_f64 v[102:103], v[132:133], v[102:103], v[104:105]
	v_fma_f64 v[32:33], v[138:139], v[106:107], -v[116:117]
	v_fma_f64 v[94:95], v[166:167], v[4:5], v[126:127]
	v_add_f64 v[4:5], v[70:71], v[28:29]
	v_add_f64 v[104:105], v[72:73], v[30:31]
	v_add_f64 v[130:131], v[36:37], -v[20:21]
	v_fma_f64 v[34:35], v[118:119], v[110:111], -v[74:75]
	v_fma_f64 v[46:47], v[120:121], v[110:111], v[76:77]
	v_add_f64 v[74:75], v[52:53], v[36:37]
	v_add_f64 v[76:77], v[48:49], v[20:21]
	v_fma_f64 v[118:119], v[16:17], v[0:1], -v[128:129]
	v_add_f64 v[16:17], v[56:57], v[24:25]
	v_add_f64 v[116:117], v[86:87], -v[112:113]
	v_add_f64 v[122:123], v[2:3], -v[42:43]
	v_fma_f64 v[40:41], v[140:141], v[106:107], v[108:109]
	v_add_f64 v[106:107], v[58:59], v[26:27]
	v_fma_f64 v[120:121], v[18:19], v[0:1], v[78:79]
	v_add_f64 v[0:1], v[48:49], -v[52:53]
	v_add_f64 v[18:19], v[20:21], -v[36:37]
	;; [unrolled: 1-line block ×9, first 2 shown]
	v_add_f64 v[140:141], v[114:115], v[44:45]
	v_add_f64 v[144:145], v[112:113], v[42:43]
	v_add_f64 v[146:147], v[86:87], v[2:3]
	v_add_f64 v[126:127], v[6:7], -v[44:45]
	v_add_f64 v[142:143], v[100:101], v[6:7]
	v_add_f64 v[150:151], v[114:115], -v[100:101]
	v_add_f64 v[152:153], v[44:45], -v[6:7]
	;; [unrolled: 1-line block ×4, first 2 shown]
	v_fma_f64 v[80:81], v[80:81], -0.5, v[14:15]
	v_fma_f64 v[88:89], v[88:89], -0.5, v[14:15]
	v_add_f64 v[172:173], v[26:27], -v[30:31]
	v_add_f64 v[178:179], v[98:99], -v[102:103]
	;; [unrolled: 1-line block ×5, first 2 shown]
	v_fma_f64 v[82:83], v[74:75], -0.5, v[12:13]
	v_fma_f64 v[84:85], v[76:77], -0.5, v[12:13]
	;; [unrolled: 1-line block ×5, first 2 shown]
	v_add_f64 v[104:105], v[116:117], v[122:123]
	v_add_f64 v[122:123], v[94:95], v[100:101]
	v_fma_f64 v[78:79], v[106:107], -0.5, v[10:11]
	v_add_f64 v[116:117], v[28:29], -v[24:25]
	v_add_f64 v[0:1], v[0:1], v[18:19]
	v_add_f64 v[18:19], v[46:47], -v[40:41]
	v_add_f64 v[4:5], v[108:109], v[110:111]
	v_add_f64 v[10:11], v[128:129], v[130:131]
	;; [unrolled: 1-line block ×3, first 2 shown]
	v_add_f64 v[128:129], v[30:31], -v[26:27]
	v_add_f64 v[108:109], v[136:137], v[138:139]
	v_fma_f64 v[130:131], v[140:141], -0.5, v[94:95]
	v_add_f64 v[134:135], v[96:97], -v[90:91]
	v_fma_f64 v[136:137], v[144:145], -0.5, v[92:93]
	v_add_f64 v[106:107], v[124:125], v[126:127]
	v_add_f64 v[124:125], v[92:93], v[86:87]
	v_add_f64 v[126:127], v[72:73], -v[58:59]
	v_fma_f64 v[132:133], v[142:143], -0.5, v[94:95]
	v_fma_f64 v[138:139], v[146:147], -0.5, v[92:93]
	v_add_f64 v[140:141], v[32:33], -v[34:35]
	v_add_f64 v[110:111], v[150:151], v[152:153]
	v_add_f64 v[142:143], v[102:103], -v[98:99]
	v_add_f64 v[14:15], v[166:167], v[168:169]
	v_add_f64 v[144:145], v[40:41], -v[46:47]
	v_add_f64 v[152:153], v[114:115], -v[44:45]
	;; [unrolled: 1-line block ×3, first 2 shown]
	v_add_f64 v[16:17], v[170:171], v[172:173]
	v_add_f64 v[146:147], v[102:103], v[40:41]
	;; [unrolled: 1-line block ×4, first 2 shown]
	v_add_f64 v[170:171], v[86:87], -v[2:3]
	v_add_f64 v[172:173], v[102:103], -v[40:41]
	;; [unrolled: 1-line block ×3, first 2 shown]
	v_add_f64 v[92:93], v[174:175], v[176:177]
	v_add_f64 v[114:115], v[122:123], v[114:115]
	;; [unrolled: 1-line block ×6, first 2 shown]
	v_add_f64 v[124:125], v[100:101], -v[6:7]
	v_add_f64 v[86:87], v[126:127], v[128:129]
	v_add_f64 v[126:127], v[96:97], v[32:33]
	;; [unrolled: 1-line block ×5, first 2 shown]
	v_fma_f64 v[134:135], v[152:153], s[6:7], v[138:139]
	v_fma_f64 v[140:141], v[168:169], s[2:3], v[132:133]
	;; [unrolled: 1-line block ×3, first 2 shown]
	v_fma_f64 v[142:143], v[146:147], -0.5, v[120:121]
	v_fma_f64 v[120:121], v[150:151], -0.5, v[120:121]
	v_add_f64 v[102:103], v[166:167], v[102:103]
	v_add_f64 v[150:151], v[96:97], -v[32:33]
	v_fma_f64 v[146:147], v[170:171], s[6:7], v[130:131]
	v_fma_f64 v[130:131], v[170:171], s[2:3], v[130:131]
	;; [unrolled: 1-line block ×3, first 2 shown]
	v_add_f64 v[44:45], v[114:115], v[44:45]
	v_fma_f64 v[144:145], v[122:123], -0.5, v[118:119]
	v_add_f64 v[42:43], v[112:113], v[42:43]
	v_fma_f64 v[118:119], v[126:127], -0.5, v[118:119]
	v_add_f64 v[96:97], v[128:129], v[96:97]
	v_fma_f64 v[128:129], v[124:125], s[2:3], v[136:137]
	v_fma_f64 v[136:137], v[124:125], s[6:7], v[136:137]
	;; [unrolled: 1-line block ×5, first 2 shown]
	v_add_f64 v[170:171], v[90:91], -v[34:35]
	v_add_f64 v[90:91], v[52:53], -v[36:37]
	v_add_f64 v[40:41], v[102:103], v[40:41]
	v_fma_f64 v[178:179], v[150:151], s[6:7], v[120:121]
	v_fma_f64 v[140:141], v[168:169], s[12:13], v[146:147]
	v_add_f64 v[146:147], v[148:149], v[52:53]
	v_fma_f64 v[124:125], v[124:125], s[12:13], v[138:139]
	v_add_f64 v[148:149], v[160:161], v[54:55]
	v_add_f64 v[52:53], v[72:73], -v[30:31]
	v_add_nc_u32_e32 v161, 0xffffff9c, v60
	v_add_f64 v[6:7], v[44:45], v[6:7]
	v_fma_f64 v[166:167], v[172:173], s[6:7], v[144:145]
	v_fma_f64 v[144:145], v[172:173], s[2:3], v[144:145]
	v_add_nc_u32_e32 v160, 0x140, v60
	v_cndmask_b32_e64 v161, v161, v60, s0
	v_add_f64 v[42:43], v[42:43], v[2:3]
	v_fma_f64 v[174:175], v[98:99], s[2:3], v[118:119]
	v_fma_f64 v[176:177], v[98:99], s[6:7], v[118:119]
	v_add_f64 v[118:119], v[48:49], -v[20:21]
	v_fma_f64 v[138:139], v[152:153], s[10:11], v[128:129]
	v_fma_f64 v[132:133], v[152:153], s[12:13], v[136:137]
	;; [unrolled: 1-line block ×4, first 2 shown]
	v_add_f64 v[120:121], v[50:51], -v[22:23]
	v_add_f64 v[48:49], v[56:57], -v[24:25]
	v_fma_f64 v[152:153], v[170:171], s[2:3], v[142:143]
	v_add_f64 v[56:57], v[164:165], v[72:73]
	v_add_f64 v[50:51], v[70:71], -v[28:29]
	v_fma_f64 v[134:135], v[110:111], s[14:15], v[134:135]
	v_fma_f64 v[140:141], v[106:107], s[14:15], v[140:141]
	v_add_f64 v[36:37], v[146:147], v[36:37]
	v_fma_f64 v[122:123], v[108:109], s[14:15], v[122:123]
	v_fma_f64 v[108:109], v[108:109], s[14:15], v[124:125]
	;; [unrolled: 1-line block ×3, first 2 shown]
	v_add_f64 v[32:33], v[96:97], v[32:33]
	v_lshrrev_b16 v165, 2, v160
	v_fma_f64 v[128:129], v[98:99], s[10:11], v[166:167]
	v_fma_f64 v[130:131], v[98:99], s[12:13], v[144:145]
	;; [unrolled: 1-line block ×3, first 2 shown]
	v_add_f64 v[98:99], v[54:55], -v[38:39]
	v_add_f64 v[54:55], v[58:59], -v[26:27]
	v_add_f64 v[58:59], v[162:163], v[70:71]
	v_fma_f64 v[70:71], v[170:171], s[10:11], v[178:179]
	v_add_f64 v[38:39], v[148:149], v[38:39]
	v_fma_f64 v[148:149], v[90:91], s[2:3], v[88:89]
	v_fma_f64 v[88:89], v[90:91], s[6:7], v[88:89]
	v_add_nc_u16 v164, v60, 0x1e0
	v_fma_f64 v[142:143], v[172:173], s[10:11], v[174:175]
	v_fma_f64 v[162:163], v[172:173], s[12:13], v[176:177]
	;; [unrolled: 1-line block ×16, first 2 shown]
	v_add_f64 v[30:31], v[56:57], v[30:31]
	v_add_f64 v[20:21], v[36:37], v[20:21]
	v_mul_f64 v[96:97], v[140:141], s[10:11]
	v_fma_f64 v[128:129], v[100:101], s[14:15], v[128:129]
	v_fma_f64 v[100:101], v[100:101], s[14:15], v[130:131]
	;; [unrolled: 1-line block ×9, first 2 shown]
	v_add_f64 v[28:29], v[58:59], v[28:29]
	v_add_f64 v[22:23], v[38:39], v[22:23]
	v_fma_f64 v[58:59], v[118:119], s[12:13], v[148:149]
	v_fma_f64 v[88:89], v[118:119], s[10:11], v[88:89]
	v_lshrrev_b16 v153, 2, v156
	v_mov_b32_e32 v152, v61
	v_fma_f64 v[142:143], v[92:93], s[14:15], v[142:143]
	v_fma_f64 v[92:93], v[92:93], s[14:15], v[162:163]
	;; [unrolled: 1-line block ×3, first 2 shown]
	v_mul_f64 v[102:103], v[138:139], s[12:13]
	v_fma_f64 v[80:81], v[90:91], s[10:11], v[80:81]
	v_mul_f64 v[114:115], v[108:109], s[14:15]
	v_fma_f64 v[72:73], v[116:117], s[14:15], v[72:73]
	v_fma_f64 v[36:37], v[98:99], s[10:11], v[112:113]
	;; [unrolled: 1-line block ×3, first 2 shown]
	v_mul_f64 v[98:99], v[134:135], s[2:3]
	v_mul_f64 v[112:113], v[122:123], s[6:7]
	;; [unrolled: 1-line block ×3, first 2 shown]
	v_fma_f64 v[118:119], v[50:51], s[12:13], v[126:127]
	v_mul_f64 v[126:127], v[106:107], s[16:17]
	v_fma_f64 v[130:131], v[48:49], s[12:13], v[136:137]
	v_fma_f64 v[48:49], v[48:49], s[10:11], v[78:79]
	v_fma_f64 v[8:9], v[50:51], s[10:11], v[8:9]
	v_add_f64 v[26:27], v[30:31], v[26:27]
	v_add_f64 v[30:31], v[40:41], v[46:47]
	v_fma_f64 v[44:45], v[138:139], s[16:17], v[96:97]
	v_mul_f64 v[78:79], v[128:129], s[6:7]
	v_mul_f64 v[50:51], v[100:101], s[14:15]
	v_fma_f64 v[144:145], v[94:95], s[14:15], v[144:145]
	v_fma_f64 v[94:95], v[94:95], s[14:15], v[150:151]
	;; [unrolled: 1-line block ×5, first 2 shown]
	v_mul_f64 v[124:125], v[104:105], s[16:17]
	v_fma_f64 v[120:121], v[54:55], s[10:11], v[132:133]
	v_fma_f64 v[54:55], v[54:55], s[12:13], v[76:77]
	v_fma_f64 v[52:53], v[52:53], s[12:13], v[74:75]
	v_mul_f64 v[136:137], v[70:71], s[14:15]
	v_add_f64 v[24:25], v[28:29], v[24:25]
	v_add_f64 v[28:29], v[32:33], v[34:35]
	;; [unrolled: 1-line block ×3, first 2 shown]
	v_add_f64 v[6:7], v[22:23], -v[6:7]
	v_and_b32_e32 v153, 0xffff, v153
	v_mul_i32_i24_e32 v151, 3, v161
	v_mul_f64 v[132:133], v[142:143], s[12:13]
	v_mul_f64 v[146:147], v[92:93], s[16:17]
	v_fma_f64 v[34:35], v[4:5], s[14:15], v[38:39]
	v_fma_f64 v[46:47], v[140:141], s[16:17], v[102:103]
	;; [unrolled: 1-line block ×4, first 2 shown]
	v_mul_f64 v[74:75], v[72:73], s[2:3]
	v_fma_f64 v[32:33], v[0:1], s[14:15], v[36:37]
	v_fma_f64 v[58:59], v[0:1], s[14:15], v[82:83]
	;; [unrolled: 1-line block ×3, first 2 shown]
	v_add_f64 v[0:1], v[20:21], v[42:43]
	v_fma_f64 v[96:97], v[108:109], s[6:7], -v[116:117]
	v_fma_f64 v[98:99], v[16:17], s[14:15], v[118:119]
	v_fma_f64 v[104:105], v[104:105], s[12:13], -v[126:127]
	v_fma_f64 v[108:109], v[86:87], s[14:15], v[130:131]
	v_add_f64 v[4:5], v[20:21], -v[42:43]
	v_mul_u32_u24_e32 v119, 0x147b, v153
	v_and_b32_e32 v118, 0xffff, v155
	v_fma_f64 v[116:117], v[70:71], s[2:3], -v[50:51]
	v_mul_f64 v[76:77], v[144:145], s[10:11]
	v_mul_f64 v[148:149], v[94:95], s[16:17]
	v_fma_f64 v[36:37], v[10:11], s[14:15], v[56:57]
	v_fma_f64 v[40:41], v[10:11], s[14:15], v[84:85]
	;; [unrolled: 1-line block ×5, first 2 shown]
	v_fma_f64 v[90:91], v[110:111], s[2:3], -v[114:115]
	v_fma_f64 v[106:107], v[106:107], s[10:11], -v[124:125]
	v_fma_f64 v[110:111], v[18:19], s[14:15], v[54:55]
	v_fma_f64 v[102:103], v[18:19], s[14:15], v[120:121]
	;; [unrolled: 1-line block ×4, first 2 shown]
	v_fma_f64 v[100:101], v[100:101], s[6:7], -v[136:137]
	v_fma_f64 v[52:53], v[14:15], s[14:15], v[52:53]
	v_fma_f64 v[114:115], v[16:17], s[14:15], v[8:9]
	v_add_f64 v[8:9], v[24:25], v[28:29]
	v_fma_f64 v[94:95], v[94:95], s[10:11], -v[146:147]
	v_add_f64 v[10:11], v[26:27], v[30:31]
	v_add_f64 v[18:19], v[34:35], v[46:47]
	v_add_f64 v[12:13], v[24:25], -v[28:29]
	v_add_f64 v[14:15], v[26:27], -v[30:31]
	v_fma_f64 v[74:75], v[128:129], s[14:15], v[74:75]
	v_add_f64 v[16:17], v[32:33], v[44:45]
	v_add_f64 v[20:21], v[32:33], -v[44:45]
	v_add_f64 v[22:23], v[34:35], -v[46:47]
	v_add_f64 v[42:43], v[80:81], v[104:105]
	v_add_f64 v[46:47], v[80:81], -v[104:105]
	v_fma_f64 v[54:55], v[142:143], s[16:17], v[76:77]
	v_fma_f64 v[76:77], v[144:145], s[16:17], v[132:133]
	v_fma_f64 v[92:93], v[92:93], s[12:13], -v[148:149]
	v_add_f64 v[24:25], v[36:37], v[82:83]
	v_add_f64 v[26:27], v[38:39], v[84:85]
	;; [unrolled: 1-line block ×3, first 2 shown]
	v_add_f64 v[28:29], v[36:37], -v[82:83]
	v_add_f64 v[32:33], v[40:41], v[90:91]
	v_add_f64 v[36:37], v[40:41], -v[90:91]
	v_add_f64 v[40:41], v[58:59], v[106:107]
	v_add_f64 v[30:31], v[38:39], -v[84:85]
	v_add_f64 v[38:39], v[56:57], -v[96:97]
	;; [unrolled: 1-line block ×3, first 2 shown]
	v_add_f64 v[72:73], v[108:109], v[86:87]
	v_add_f64 v[78:79], v[110:111], v[116:117]
	;; [unrolled: 1-line block ×3, first 2 shown]
	v_lshlrev_b32_e32 v97, 4, v157
	v_add_f64 v[82:83], v[52:53], v[94:95]
	v_add_f64 v[90:91], v[52:53], -v[94:95]
	v_mul_u32_u24_e32 v94, 0x640, v118
	v_lshlrev_b64 v[52:53], 4, v[151:152]
	v_mul_u32_u24_e32 v95, 0x640, v158
	v_add_f64 v[70:71], v[102:103], v[74:75]
	v_add_f64 v[74:75], v[102:103], -v[74:75]
	v_add3_u32 v94, 0, v94, v97
	v_and_b32_e32 v59, 0xffff, v165
	v_add_co_u32 v52, s0, s4, v52
	s_delay_alu instid0(VALU_DEP_1)
	v_add_co_ci_u32_e64 v53, s0, s5, v53, s0
	v_cmp_lt_u32_e64 s0, 0x63, v60
	v_add_f64 v[48:49], v[88:89], v[54:55]
	v_add_f64 v[50:51], v[98:99], v[76:77]
	;; [unrolled: 1-line block ×3, first 2 shown]
	v_add_f64 v[55:56], v[88:89], -v[54:55]
	v_add_f64 v[57:58], v[98:99], -v[76:77]
	;; [unrolled: 1-line block ×6, first 2 shown]
	v_lshrrev_b32_e32 v54, 17, v119
	v_lshlrev_b32_e32 v98, 4, v159
	s_delay_alu instid0(VALU_DEP_2) | instskip(NEXT) | instid1(VALU_DEP_2)
	v_mul_lo_u16 v96, 0x64, v54
	v_add3_u32 v95, 0, v95, v98
	ds_store_b128 v94, v[0:3]
	ds_store_b128 v94, v[16:19] offset:160
	ds_store_b128 v94, v[24:27] offset:320
	ds_store_b128 v94, v[32:35] offset:480
	ds_store_b128 v94, v[4:7] offset:800
	ds_store_b128 v94, v[40:43] offset:640
	ds_store_b128 v94, v[20:23] offset:960
	ds_store_b128 v94, v[28:31] offset:1120
	ds_store_b128 v94, v[36:39] offset:1280
	ds_store_b128 v94, v[44:47] offset:1440
	ds_store_b128 v95, v[8:11]
	ds_store_b128 v95, v[48:51] offset:160
	ds_store_b128 v95, v[70:73] offset:320
	;; [unrolled: 1-line block ×9, first 2 shown]
	v_sub_nc_u16 v96, v156, v96
	v_add_nc_u16 v20, v60, 0x280
	v_lshrrev_b16 v8, 2, v164
	v_mul_u32_u24_e32 v9, 0x147b, v59
	s_waitcnt lgkmcnt(0)
	v_and_b32_e32 v55, 0xffff, v96
	s_barrier
	buffer_gl0_inv
	global_load_b128 v[0:3], v[52:53], off offset:1440
	v_lshrrev_b16 v13, 2, v20
	v_mul_u32_u24_e32 v12, 3, v55
	v_and_b32_e32 v14, 0xffff, v8
	v_lshrrev_b32_e32 v56, 17, v9
	global_load_b128 v[4:7], v[52:53], off offset:1456
	v_and_b32_e32 v16, 0xffff, v13
	v_lshlrev_b32_e32 v21, 4, v12
	v_mul_u32_u24_e32 v17, 0x147b, v14
	v_mul_lo_u16 v18, 0x64, v56
	global_load_b128 v[8:11], v[52:53], off offset:1472
	v_mul_u32_u24_e32 v23, 0x147b, v16
	global_load_b128 v[12:15], v21, s[4:5] offset:1440
	v_lshrrev_b32_e32 v57, 17, v17
	v_sub_nc_u16 v22, v160, v18
	global_load_b128 v[16:19], v21, s[4:5] offset:1456
	v_lshrrev_b32_e32 v59, 17, v23
	v_lshlrev_b32_e32 v55, 4, v55
	v_mul_lo_u16 v24, 0x64, v57
	v_and_b32_e32 v58, 0xffff, v22
	s_delay_alu instid0(VALU_DEP_2) | instskip(SKIP_1) | instid1(VALU_DEP_3)
	v_sub_nc_u16 v22, v164, v24
	v_mul_lo_u16 v24, 0x64, v59
	v_mul_u32_u24_e32 v23, 3, v58
	s_delay_alu instid0(VALU_DEP_3) | instskip(NEXT) | instid1(VALU_DEP_3)
	v_and_b32_e32 v70, 0xffff, v22
	v_sub_nc_u16 v28, v20, v24
	s_delay_alu instid0(VALU_DEP_3)
	v_lshlrev_b32_e32 v32, 4, v23
	global_load_b128 v[20:23], v21, s[4:5] offset:1472
	v_mul_u32_u24_e32 v33, 3, v70
	v_and_b32_e32 v71, 0xffff, v28
	s_clause 0x1
	global_load_b128 v[24:27], v32, s[4:5] offset:1440
	global_load_b128 v[28:31], v32, s[4:5] offset:1456
	v_lshlrev_b32_e32 v44, 4, v33
	v_mul_u32_u24_e32 v45, 3, v71
	s_clause 0x2
	global_load_b128 v[32:35], v32, s[4:5] offset:1472
	global_load_b128 v[36:39], v44, s[4:5] offset:1440
	;; [unrolled: 1-line block ×3, first 2 shown]
	v_lshlrev_b32_e32 v52, 4, v45
	s_clause 0x3
	global_load_b128 v[44:47], v44, s[4:5] offset:1472
	global_load_b128 v[48:51], v52, s[4:5] offset:1440
	;; [unrolled: 1-line block ×4, first 2 shown]
	ds_load_b128 v[80:83], v154 offset:12800
	ds_load_b128 v[84:87], v154 offset:25600
	;; [unrolled: 1-line block ×15, first 2 shown]
	ds_load_b128 v[140:143], v154
	s_waitcnt vmcnt(14) lgkmcnt(15)
	v_mul_f64 v[52:53], v[82:83], v[2:3]
	v_mul_f64 v[2:3], v[80:81], v[2:3]
	s_waitcnt vmcnt(13) lgkmcnt(14)
	v_mul_f64 v[144:145], v[86:87], v[6:7]
	v_mul_f64 v[6:7], v[84:85], v[6:7]
	;; [unrolled: 3-line block ×5, first 2 shown]
	v_fma_f64 v[80:81], v[80:81], v[0:1], -v[52:53]
	v_fma_f64 v[82:83], v[82:83], v[0:1], v[2:3]
	s_waitcnt vmcnt(9) lgkmcnt(9)
	v_mul_f64 v[0:1], v[106:107], v[22:23]
	v_mul_f64 v[2:3], v[104:105], v[22:23]
	s_waitcnt vmcnt(8) lgkmcnt(8)
	v_mul_f64 v[22:23], v[110:111], v[26:27]
	v_mul_f64 v[26:27], v[108:109], v[26:27]
	v_fma_f64 v[52:53], v[84:85], v[4:5], -v[144:145]
	v_fma_f64 v[4:5], v[86:87], v[4:5], v[6:7]
	s_waitcnt vmcnt(7) lgkmcnt(7)
	v_mul_f64 v[6:7], v[114:115], v[30:31]
	v_mul_f64 v[30:31], v[112:113], v[30:31]
	s_waitcnt vmcnt(6) lgkmcnt(6)
	v_mul_f64 v[84:85], v[118:119], v[34:35]
	v_mul_f64 v[34:35], v[116:117], v[34:35]
	v_fma_f64 v[86:87], v[88:89], v[8:9], -v[146:147]
	v_fma_f64 v[8:9], v[90:91], v[8:9], v[10:11]
	s_waitcnt vmcnt(5) lgkmcnt(5)
	v_mul_f64 v[10:11], v[122:123], v[38:39]
	v_mul_f64 v[38:39], v[120:121], v[38:39]
	s_waitcnt vmcnt(4) lgkmcnt(3)
	v_mul_f64 v[88:89], v[130:131], v[42:43]
	v_mul_f64 v[42:43], v[128:129], v[42:43]
	v_fma_f64 v[90:91], v[92:93], v[12:13], -v[148:149]
	v_fma_f64 v[92:93], v[94:95], v[12:13], v[14:15]
	s_waitcnt vmcnt(3)
	v_mul_f64 v[12:13], v[126:127], v[46:47]
	v_mul_f64 v[14:15], v[124:125], v[46:47]
	s_waitcnt vmcnt(2)
	v_mul_f64 v[46:47], v[102:103], v[50:51]
	v_mul_f64 v[50:51], v[100:101], v[50:51]
	v_fma_f64 v[94:95], v[96:97], v[16:17], -v[150:151]
	v_fma_f64 v[16:17], v[98:99], v[16:17], v[18:19]
	s_waitcnt vmcnt(1) lgkmcnt(2)
	v_mul_f64 v[18:19], v[134:135], v[74:75]
	v_mul_f64 v[74:75], v[132:133], v[74:75]
	s_waitcnt vmcnt(0) lgkmcnt(1)
	v_mul_f64 v[96:97], v[138:139], v[78:79]
	v_mul_f64 v[78:79], v[136:137], v[78:79]
	v_fma_f64 v[98:99], v[104:105], v[20:21], -v[0:1]
	v_fma_f64 v[20:21], v[106:107], v[20:21], v[2:3]
	v_fma_f64 v[104:105], v[108:109], v[24:25], -v[22:23]
	v_fma_f64 v[106:107], v[110:111], v[24:25], v[26:27]
	s_waitcnt lgkmcnt(0)
	v_add_f64 v[0:1], v[140:141], -v[52:53]
	v_add_f64 v[2:3], v[142:143], -v[4:5]
	v_fma_f64 v[22:23], v[112:113], v[28:29], -v[6:7]
	v_fma_f64 v[108:109], v[114:115], v[28:29], v[30:31]
	v_fma_f64 v[84:85], v[116:117], v[32:33], -v[84:85]
	v_fma_f64 v[110:111], v[118:119], v[32:33], v[34:35]
	;; [unrolled: 2-line block ×4, first 2 shown]
	ds_load_b128 v[24:27], v154 offset:2560
	ds_load_b128 v[28:31], v154 offset:5120
	;; [unrolled: 1-line block ×4, first 2 shown]
	v_add_f64 v[40:41], v[80:81], -v[86:87]
	v_fma_f64 v[118:119], v[124:125], v[44:45], -v[12:13]
	v_fma_f64 v[120:121], v[126:127], v[44:45], v[14:15]
	v_fma_f64 v[100:101], v[100:101], v[48:49], -v[46:47]
	v_fma_f64 v[102:103], v[102:103], v[48:49], v[50:51]
	v_add_f64 v[42:43], v[82:83], -v[8:9]
	s_waitcnt lgkmcnt(0)
	v_fma_f64 v[18:19], v[132:133], v[72:73], -v[18:19]
	v_fma_f64 v[72:73], v[134:135], v[72:73], v[74:75]
	v_fma_f64 v[74:75], v[136:137], v[76:77], -v[96:97]
	v_fma_f64 v[76:77], v[138:139], v[76:77], v[78:79]
	s_barrier
	buffer_gl0_inv
	v_add_f64 v[6:7], v[24:25], -v[94:95]
	v_add_f64 v[4:5], v[26:27], -v[16:17]
	;; [unrolled: 1-line block ×4, first 2 shown]
	v_fma_f64 v[20:21], v[140:141], 2.0, -v[0:1]
	v_add_f64 v[10:11], v[28:29], -v[22:23]
	v_add_f64 v[8:9], v[30:31], -v[108:109]
	;; [unrolled: 1-line block ×4, first 2 shown]
	v_fma_f64 v[22:23], v[142:143], 2.0, -v[2:3]
	v_add_f64 v[14:15], v[32:33], -v[88:89]
	v_add_f64 v[12:13], v[34:35], -v[116:117]
	;; [unrolled: 1-line block ×8, first 2 shown]
	v_fma_f64 v[77:78], v[80:81], 2.0, -v[40:41]
	v_fma_f64 v[79:80], v[82:83], 2.0, -v[42:43]
	v_mul_u32_u24_e32 v72, 3, v60
	v_add_nc_u32_e32 v73, 0xffffffb0, v60
	v_add_f64 v[75:76], v[2:3], v[40:41]
	v_fma_f64 v[24:25], v[24:25], 2.0, -v[6:7]
	v_fma_f64 v[26:27], v[26:27], 2.0, -v[4:5]
	;; [unrolled: 1-line block ×4, first 2 shown]
	v_add_f64 v[40:41], v[6:7], -v[46:47]
	v_fma_f64 v[28:29], v[28:29], 2.0, -v[10:11]
	v_fma_f64 v[30:31], v[30:31], 2.0, -v[8:9]
	;; [unrolled: 1-line block ×4, first 2 shown]
	v_add_f64 v[46:47], v[8:9], v[48:49]
	v_fma_f64 v[32:33], v[32:33], 2.0, -v[14:15]
	v_fma_f64 v[34:35], v[34:35], 2.0, -v[12:13]
	;; [unrolled: 1-line block ×4, first 2 shown]
	v_add_f64 v[48:49], v[14:15], -v[94:95]
	v_fma_f64 v[36:37], v[36:37], 2.0, -v[18:19]
	v_fma_f64 v[38:39], v[38:39], 2.0, -v[16:17]
	;; [unrolled: 1-line block ×4, first 2 shown]
	v_cndmask_b32_e64 v102, 0, 0x1900, s0
	v_cmp_gt_u32_e64 s0, 0x50, v60
	v_lshlrev_b32_e32 v103, 4, v72
	v_add_f64 v[77:78], v[20:21], -v[77:78]
	v_add_f64 v[79:80], v[22:23], -v[79:80]
	;; [unrolled: 1-line block ×3, first 2 shown]
	v_cndmask_b32_e64 v72, v73, v160, s0
	v_add_f64 v[73:74], v[0:1], -v[42:43]
	v_add_f64 v[42:43], v[4:5], v[44:45]
	v_add_f64 v[44:45], v[10:11], -v[50:51]
	v_add_f64 v[81:82], v[24:25], -v[81:82]
	;; [unrolled: 1-line block ×3, first 2 shown]
	v_add_f64 v[50:51], v[12:13], v[52:53]
	v_add_f64 v[95:96], v[16:17], v[108:109]
	v_fma_f64 v[2:3], v[2:3], 2.0, -v[75:76]
	v_add_nc_u32_e32 v109, 0xf00, v103
	v_add_nc_u32_e32 v110, 0x2d00, v103
	v_add_co_u32 v111, s0, s4, v103
	v_add_f64 v[85:86], v[28:29], -v[85:86]
	v_add_f64 v[87:88], v[30:31], -v[87:88]
	v_mov_b32_e32 v53, v61
	v_mul_i32_i24_e32 v52, 3, v72
	v_add_co_ci_u32_e64 v112, null, s5, 0, s0
	v_add_co_u32 v105, s0, 0x1000, v111
	v_add_f64 v[89:90], v[32:33], -v[89:90]
	v_add_f64 v[91:92], v[34:35], -v[91:92]
	s_delay_alu instid0(VALU_DEP_4) | instskip(SKIP_1) | instid1(VALU_DEP_1)
	v_add_co_ci_u32_e64 v106, s0, 0, v112, s0
	v_add_co_u32 v107, s0, 0x1860, v111
	v_add_co_ci_u32_e64 v108, s0, 0, v112, s0
	v_add_f64 v[97:98], v[36:37], -v[98:99]
	v_add_f64 v[99:100], v[38:39], -v[100:101]
	v_lshlrev_b32_e32 v101, 4, v161
	v_fma_f64 v[20:21], v[20:21], 2.0, -v[77:78]
	v_fma_f64 v[22:23], v[22:23], 2.0, -v[79:80]
	s_delay_alu instid0(VALU_DEP_3)
	v_add3_u32 v113, 0, v102, v101
	v_fma_f64 v[101:102], v[6:7], 2.0, -v[40:41]
	v_fma_f64 v[0:1], v[0:1], 2.0, -v[73:74]
	v_fma_f64 v[103:104], v[4:5], 2.0, -v[42:43]
	v_fma_f64 v[4:5], v[10:11], 2.0, -v[44:45]
	v_fma_f64 v[24:25], v[24:25], 2.0, -v[81:82]
	v_fma_f64 v[26:27], v[26:27], 2.0, -v[83:84]
	v_fma_f64 v[6:7], v[8:9], 2.0, -v[46:47]
	v_fma_f64 v[8:9], v[14:15], 2.0, -v[48:49]
	v_fma_f64 v[10:11], v[12:13], 2.0, -v[50:51]
	v_fma_f64 v[12:13], v[18:19], 2.0, -v[93:94]
	v_fma_f64 v[14:15], v[16:17], 2.0, -v[95:96]
	v_lshlrev_b64 v[16:17], 4, v[52:53]
	v_mul_u32_u24_e32 v52, 0x1900, v54
	v_fma_f64 v[28:29], v[28:29], 2.0, -v[85:86]
	v_fma_f64 v[30:31], v[30:31], 2.0, -v[87:88]
	v_mul_u32_u24_e32 v53, 0x1900, v56
	v_mul_u32_u24_e32 v54, 0x1900, v57
	;; [unrolled: 1-line block ×3, first 2 shown]
	v_lshlrev_b32_e32 v57, 4, v58
	v_lshlrev_b32_e32 v58, 4, v70
	v_lshlrev_b32_e32 v59, 4, v71
	v_add_co_u32 v18, s0, 0x3000, v111
	v_fma_f64 v[32:33], v[32:33], 2.0, -v[89:90]
	v_fma_f64 v[34:35], v[34:35], 2.0, -v[91:92]
	v_add3_u32 v52, 0, v52, v55
	v_add_co_ci_u32_e64 v19, s0, 0, v112, s0
	v_add3_u32 v53, 0, v53, v57
	v_add3_u32 v54, 0, v54, v58
	v_fma_f64 v[36:37], v[36:37], 2.0, -v[97:98]
	v_fma_f64 v[38:39], v[38:39], 2.0, -v[99:100]
	v_add3_u32 v55, 0, v56, v59
	ds_store_b128 v113, v[73:76] offset:4800
	ds_store_b128 v113, v[77:80] offset:3200
	;; [unrolled: 1-line block ×3, first 2 shown]
	ds_store_b128 v113, v[20:23]
	ds_store_b128 v52, v[24:27]
	ds_store_b128 v52, v[101:104] offset:1600
	ds_store_b128 v52, v[81:84] offset:3200
	ds_store_b128 v52, v[40:43] offset:4800
	ds_store_b128 v53, v[28:31]
	ds_store_b128 v53, v[4:7] offset:1600
	ds_store_b128 v53, v[85:88] offset:3200
	ds_store_b128 v53, v[44:47] offset:4800
	;; [unrolled: 4-line block ×4, first 2 shown]
	s_waitcnt lgkmcnt(0)
	s_barrier
	buffer_gl0_inv
	s_clause 0x3
	global_load_b128 v[0:3], v[105:106], off offset:2144
	global_load_b128 v[12:15], v[18:19], off offset:1632
	;; [unrolled: 1-line block ×4, first 2 shown]
	v_add_co_u32 v20, s0, 0x3660, v111
	s_delay_alu instid0(VALU_DEP_1) | instskip(SKIP_1) | instid1(VALU_DEP_1)
	v_add_co_ci_u32_e64 v21, s0, 0, v112, s0
	v_add_co_u32 v34, s0, s4, v109
	v_add_co_ci_u32_e64 v35, null, s5, 0, s0
	v_add_co_u32 v50, s0, s4, v110
	s_delay_alu instid0(VALU_DEP_1) | instskip(SKIP_1) | instid1(VALU_DEP_1)
	v_add_co_ci_u32_e64 v51, null, s5, 0, s0
	v_add_co_u32 v16, s0, s4, v16
	v_add_co_ci_u32_e64 v17, s0, s5, v17, s0
	s_delay_alu instid0(VALU_DEP_2) | instskip(NEXT) | instid1(VALU_DEP_1)
	v_add_co_u32 v24, s0, 0x1000, v16
	v_add_co_ci_u32_e64 v25, s0, 0, v17, s0
	v_add_co_u32 v32, s0, 0x1860, v16
	s_delay_alu instid0(VALU_DEP_1) | instskip(SKIP_1) | instid1(VALU_DEP_1)
	v_add_co_ci_u32_e64 v33, s0, 0, v17, s0
	v_add_co_u32 v36, s0, 0x1000, v34
	v_add_co_ci_u32_e64 v37, s0, 0, v35, s0
	v_add_co_u32 v44, s0, 0x1860, v34
	s_delay_alu instid0(VALU_DEP_1) | instskip(SKIP_1) | instid1(VALU_DEP_1)
	v_add_co_ci_u32_e64 v45, s0, 0, v35, s0
	v_add_co_u32 v48, s0, 0x1000, v50
	v_add_co_ci_u32_e64 v49, s0, 0, v51, s0
	v_add_co_u32 v56, s0, 0x1860, v50
	s_clause 0x5
	global_load_b128 v[16:19], v[20:21], off offset:16
	global_load_b128 v[20:23], v[20:21], off offset:32
	;; [unrolled: 1-line block ×6, first 2 shown]
	v_add_co_ci_u32_e64 v57, s0, 0, v51, s0
	s_clause 0x4
	global_load_b128 v[40:43], v[44:45], off offset:16
	global_load_b128 v[44:47], v[44:45], off offset:32
	;; [unrolled: 1-line block ×5, first 2 shown]
	ds_load_b128 v[73:76], v154 offset:12800
	ds_load_b128 v[77:80], v154 offset:25600
	;; [unrolled: 1-line block ×15, first 2 shown]
	ds_load_b128 v[133:136], v154
	v_add_co_u32 v64, s0, s4, v64
	s_delay_alu instid0(VALU_DEP_1)
	v_add_co_ci_u32_e64 v65, s0, s5, v65, s0
	v_cmp_lt_u32_e64 s0, 0x4f, v60
	s_waitcnt vmcnt(14) lgkmcnt(15)
	v_mul_f64 v[70:71], v[75:76], v[2:3]
	v_mul_f64 v[2:3], v[73:74], v[2:3]
	s_waitcnt vmcnt(12) lgkmcnt(14)
	v_mul_f64 v[137:138], v[79:80], v[6:7]
	v_mul_f64 v[6:7], v[77:78], v[6:7]
	;; [unrolled: 3-line block ×3, first 2 shown]
	s_waitcnt lgkmcnt(12)
	v_mul_f64 v[141:142], v[87:88], v[14:15]
	v_mul_f64 v[14:15], v[85:86], v[14:15]
	v_fma_f64 v[70:71], v[73:74], v[0:1], -v[70:71]
	v_fma_f64 v[73:74], v[75:76], v[0:1], v[2:3]
	s_waitcnt vmcnt(10) lgkmcnt(9)
	v_mul_f64 v[143:144], v[99:100], v[18:19]
	v_mul_f64 v[18:19], v[97:98], v[18:19]
	s_waitcnt vmcnt(9)
	v_mul_f64 v[145:146], v[95:96], v[22:23]
	v_mul_f64 v[22:23], v[93:94], v[22:23]
	s_waitcnt vmcnt(8) lgkmcnt(8)
	v_mul_f64 v[147:148], v[103:104], v[26:27]
	v_mul_f64 v[26:27], v[101:102], v[26:27]
	s_waitcnt vmcnt(7) lgkmcnt(7)
	;; [unrolled: 3-line block ×4, first 2 shown]
	v_mul_f64 v[34:35], v[115:116], v[38:39]
	v_fma_f64 v[75:76], v[77:78], v[4:5], -v[137:138]
	v_fma_f64 v[4:5], v[79:80], v[4:5], v[6:7]
	v_mul_f64 v[6:7], v[113:114], v[38:39]
	s_waitcnt vmcnt(4) lgkmcnt(3)
	v_mul_f64 v[38:39], v[123:124], v[42:43]
	v_mul_f64 v[42:43], v[121:122], v[42:43]
	s_waitcnt vmcnt(3)
	v_mul_f64 v[77:78], v[119:120], v[46:47]
	v_fma_f64 v[79:80], v[81:82], v[8:9], -v[139:140]
	v_fma_f64 v[8:9], v[83:84], v[8:9], v[10:11]
	v_mul_f64 v[10:11], v[117:118], v[46:47]
	s_waitcnt vmcnt(2)
	v_mul_f64 v[46:47], v[91:92], v[50:51]
	v_mul_f64 v[50:51], v[89:90], v[50:51]
	s_waitcnt vmcnt(1) lgkmcnt(2)
	v_mul_f64 v[81:82], v[127:128], v[54:55]
	v_fma_f64 v[83:84], v[85:86], v[12:13], -v[141:142]
	v_fma_f64 v[85:86], v[87:88], v[12:13], v[14:15]
	v_mul_f64 v[12:13], v[125:126], v[54:55]
	s_waitcnt vmcnt(0) lgkmcnt(1)
	v_mul_f64 v[14:15], v[131:132], v[58:59]
	v_mul_f64 v[54:55], v[129:130], v[58:59]
	v_fma_f64 v[58:59], v[97:98], v[16:17], -v[143:144]
	v_fma_f64 v[16:17], v[99:100], v[16:17], v[18:19]
	v_fma_f64 v[18:19], v[93:94], v[20:21], -v[145:146]
	v_fma_f64 v[20:21], v[95:96], v[20:21], v[22:23]
	;; [unrolled: 2-line block ×5, first 2 shown]
	v_fma_f64 v[101:102], v[113:114], v[36:37], -v[34:35]
	s_waitcnt lgkmcnt(0)
	v_add_f64 v[0:1], v[133:134], -v[75:76]
	v_add_f64 v[2:3], v[135:136], -v[4:5]
	v_fma_f64 v[103:104], v[115:116], v[36:37], v[6:7]
	v_fma_f64 v[105:106], v[121:122], v[40:41], -v[38:39]
	v_fma_f64 v[40:41], v[123:124], v[40:41], v[42:43]
	v_fma_f64 v[42:43], v[117:118], v[44:45], -v[77:78]
	ds_load_b128 v[24:27], v154 offset:2560
	ds_load_b128 v[28:31], v154 offset:5120
	;; [unrolled: 1-line block ×4, first 2 shown]
	v_add_f64 v[75:76], v[73:74], -v[8:9]
	v_fma_f64 v[44:45], v[119:120], v[44:45], v[10:11]
	v_fma_f64 v[46:47], v[89:90], v[48:49], -v[46:47]
	v_fma_f64 v[48:49], v[91:92], v[48:49], v[50:51]
	v_fma_f64 v[50:51], v[125:126], v[52:53], -v[81:82]
	s_waitcnt lgkmcnt(0)
	s_barrier
	v_fma_f64 v[52:53], v[127:128], v[52:53], v[12:13]
	v_fma_f64 v[77:78], v[129:130], v[56:57], -v[14:15]
	v_fma_f64 v[54:55], v[131:132], v[56:57], v[54:55]
	v_add_f64 v[56:57], v[70:71], -v[79:80]
	buffer_gl0_inv
	v_add_f64 v[4:5], v[24:25], -v[58:59]
	v_add_f64 v[6:7], v[26:27], -v[16:17]
	;; [unrolled: 1-line block ×8, first 2 shown]
	v_fma_f64 v[20:21], v[133:134], 2.0, -v[0:1]
	v_fma_f64 v[22:23], v[135:136], 2.0, -v[2:3]
	v_add_f64 v[12:13], v[32:33], -v[105:106]
	v_add_f64 v[14:15], v[34:35], -v[40:41]
	;; [unrolled: 1-line block ×3, first 2 shown]
	v_fma_f64 v[99:100], v[73:74], 2.0, -v[75:76]
	v_add_f64 v[95:96], v[103:104], -v[44:45]
	v_add_f64 v[40:41], v[0:1], -v[75:76]
	;; [unrolled: 1-line block ×6, first 2 shown]
	v_fma_f64 v[70:71], v[70:71], 2.0, -v[56:57]
	v_add_f64 v[42:43], v[2:3], v[56:57]
	v_fma_f64 v[24:25], v[24:25], 2.0, -v[4:5]
	v_fma_f64 v[26:27], v[26:27], 2.0, -v[6:7]
	;; [unrolled: 1-line block ×4, first 2 shown]
	v_add_f64 v[44:45], v[4:5], -v[79:80]
	v_fma_f64 v[28:29], v[28:29], 2.0, -v[8:9]
	v_fma_f64 v[30:31], v[30:31], 2.0, -v[10:11]
	;; [unrolled: 1-line block ×4, first 2 shown]
	v_add_f64 v[50:51], v[10:11], v[81:82]
	v_fma_f64 v[32:33], v[32:33], 2.0, -v[12:13]
	v_fma_f64 v[34:35], v[34:35], 2.0, -v[14:15]
	;; [unrolled: 1-line block ×3, first 2 shown]
	v_add_f64 v[54:55], v[14:15], v[91:92]
	v_add_f64 v[75:76], v[22:23], -v[99:100]
	v_fma_f64 v[103:104], v[103:104], 2.0, -v[95:96]
	v_add_f64 v[52:53], v[12:13], -v[95:96]
	v_fma_f64 v[0:1], v[0:1], 2.0, -v[40:41]
	v_fma_f64 v[36:37], v[36:37], 2.0, -v[18:19]
	;; [unrolled: 1-line block ×5, first 2 shown]
	v_add_f64 v[46:47], v[6:7], v[58:59]
	v_add_f64 v[73:74], v[20:21], -v[70:71]
	v_add_f64 v[58:59], v[16:17], v[77:78]
	v_add_f64 v[48:49], v[8:9], -v[89:90]
	v_add_f64 v[56:57], v[18:19], -v[97:98]
	v_fma_f64 v[2:3], v[2:3], 2.0, -v[42:43]
	v_add_f64 v[77:78], v[24:25], -v[83:84]
	v_add_f64 v[79:80], v[26:27], -v[85:86]
	v_fma_f64 v[4:5], v[4:5], 2.0, -v[44:45]
	;; [unrolled: 3-line block ×3, first 2 shown]
	v_cndmask_b32_e64 v93, 0, 0x6400, s0
	v_add_co_u32 v70, s0, 0x6000, v64
	v_lshlrev_b32_e32 v64, 4, v72
	v_add_co_ci_u32_e64 v71, s0, 0, v65, s0
	v_add_f64 v[85:86], v[32:33], -v[101:102]
	v_fma_f64 v[22:23], v[22:23], 2.0, -v[75:76]
	v_add_f64 v[87:88], v[34:35], -v[103:104]
	v_add_co_u32 v72, s0, s4, v66
	v_fma_f64 v[12:13], v[12:13], 2.0, -v[52:53]
	v_fma_f64 v[14:15], v[14:15], 2.0, -v[54:55]
	v_add_co_ci_u32_e64 v99, s0, s5, v67, s0
	v_add_f64 v[89:90], v[36:37], -v[105:106]
	v_add_f64 v[91:92], v[38:39], -v[107:108]
	v_fma_f64 v[6:7], v[6:7], 2.0, -v[46:47]
	v_fma_f64 v[20:21], v[20:21], 2.0, -v[73:74]
	v_add3_u32 v100, 0, v93, v64
	v_fma_f64 v[8:9], v[8:9], 2.0, -v[48:49]
	v_fma_f64 v[64:65], v[18:19], 2.0, -v[56:57]
	;; [unrolled: 1-line block ×3, first 2 shown]
	v_add_co_u32 v93, s0, 0x6000, v72
	s_delay_alu instid0(VALU_DEP_1)
	v_add_co_ci_u32_e64 v94, s0, 0, v99, s0
	v_add_co_u32 v16, s0, 0x7000, v72
	v_fma_f64 v[24:25], v[24:25], 2.0, -v[77:78]
	v_fma_f64 v[26:27], v[26:27], 2.0, -v[79:80]
	v_add_co_ci_u32_e64 v17, s0, 0, v99, s0
	v_add_co_u32 v18, s0, 0x8000, v72
	v_fma_f64 v[28:29], v[28:29], 2.0, -v[81:82]
	v_fma_f64 v[30:31], v[30:31], 2.0, -v[83:84]
	v_add_co_ci_u32_e64 v19, s0, 0, v99, s0
	v_add_co_u32 v95, s0, 0x9000, v72
	s_delay_alu instid0(VALU_DEP_1)
	v_add_co_ci_u32_e64 v96, s0, 0, v99, s0
	v_add_co_u32 v97, s0, 0xa000, v72
	v_fma_f64 v[32:33], v[32:33], 2.0, -v[85:86]
	v_fma_f64 v[34:35], v[34:35], 2.0, -v[87:88]
	v_add_co_ci_u32_e64 v98, s0, 0, v99, s0
	v_add_co_u32 v68, s0, s4, v68
	s_delay_alu instid0(VALU_DEP_1)
	v_add_co_ci_u32_e64 v69, s0, s5, v69, s0
	v_fma_f64 v[36:37], v[36:37], 2.0, -v[89:90]
	v_fma_f64 v[38:39], v[38:39], 2.0, -v[91:92]
	ds_store_b128 v154, v[40:43] offset:19200
	ds_store_b128 v154, v[44:47] offset:21760
	;; [unrolled: 1-line block ×6, first 2 shown]
	ds_store_b128 v154, v[20:23]
	ds_store_b128 v154, v[24:27] offset:2560
	ds_store_b128 v100, v[28:31]
	ds_store_b128 v100, v[8:11] offset:6400
	ds_store_b128 v100, v[81:84] offset:12800
	;; [unrolled: 1-line block ×11, first 2 shown]
	v_add_co_u32 v32, s0, 0x6000, v68
	s_waitcnt lgkmcnt(0)
	s_barrier
	buffer_gl0_inv
	s_clause 0x2
	global_load_b128 v[0:3], v[70:71], off offset:864
	global_load_b128 v[4:7], v[93:94], off offset:3424
	;; [unrolled: 1-line block ×3, first 2 shown]
	v_add_co_ci_u32_e64 v33, s0, 0, v69, s0
	v_add_co_u32 v36, s0, 0xb000, v72
	s_clause 0x3
	global_load_b128 v[12:15], v[18:19], off offset:352
	global_load_b128 v[16:19], v[18:19], off offset:2912
	;; [unrolled: 1-line block ×4, first 2 shown]
	v_add_co_ci_u32_e64 v37, s0, 0, v99, s0
	s_clause 0x2
	global_load_b128 v[28:31], v[97:98], off offset:2400
	global_load_b128 v[32:35], v[32:33], off offset:864
	global_load_b128 v[36:39], v[36:37], off offset:3424
	ds_load_b128 v[40:43], v154 offset:25600
	ds_load_b128 v[44:47], v154 offset:28160
	ds_load_b128 v[48:51], v154 offset:30720
	ds_load_b128 v[52:55], v154 offset:33280
	ds_load_b128 v[56:59], v154 offset:35840
	ds_load_b128 v[64:67], v154 offset:38400
	ds_load_b128 v[68:71], v154 offset:40960
	ds_load_b128 v[72:75], v154 offset:43520
	ds_load_b128 v[76:79], v154 offset:46080
	ds_load_b128 v[80:83], v154 offset:48640
	ds_load_b128 v[84:87], v154
	ds_load_b128 v[88:91], v154 offset:23040
	s_waitcnt vmcnt(9) lgkmcnt(11)
	v_mul_f64 v[92:93], v[42:43], v[2:3]
	s_waitcnt vmcnt(8) lgkmcnt(10)
	v_mul_f64 v[94:95], v[46:47], v[6:7]
	v_mul_f64 v[6:7], v[44:45], v[6:7]
	s_waitcnt vmcnt(7) lgkmcnt(9)
	v_mul_f64 v[96:97], v[50:51], v[10:11]
	;; [unrolled: 3-line block ×9, first 2 shown]
	v_mul_f64 v[38:39], v[80:81], v[38:39]
	v_mul_f64 v[112:113], v[40:41], v[2:3]
	v_fma_f64 v[92:93], v[40:41], v[0:1], -v[92:93]
	v_fma_f64 v[40:41], v[44:45], v[4:5], -v[94:95]
	v_fma_f64 v[44:45], v[46:47], v[4:5], v[6:7]
	v_fma_f64 v[46:47], v[48:49], v[8:9], -v[96:97]
	v_fma_f64 v[48:49], v[50:51], v[8:9], v[10:11]
	;; [unrolled: 2-line block ×9, first 2 shown]
	v_fma_f64 v[0:1], v[42:43], v[0:1], v[112:113]
	ds_load_b128 v[2:5], v154 offset:2560
	ds_load_b128 v[6:9], v154 offset:5120
	;; [unrolled: 1-line block ×8, first 2 shown]
	s_waitcnt lgkmcnt(0)
	s_barrier
	buffer_gl0_inv
	v_add_f64 v[34:35], v[2:3], -v[40:41]
	v_add_f64 v[36:37], v[4:5], -v[44:45]
	;; [unrolled: 1-line block ×20, first 2 shown]
	v_fma_f64 v[0:1], v[2:3], 2.0, -v[34:35]
	v_fma_f64 v[2:3], v[4:5], 2.0, -v[36:37]
	;; [unrolled: 1-line block ×20, first 2 shown]
	ds_store_b128 v154, v[34:37] offset:28160
	ds_store_b128 v154, v[38:41] offset:30720
	;; [unrolled: 1-line block ×19, first 2 shown]
	ds_store_b128 v154, v[84:87]
	s_waitcnt lgkmcnt(0)
	s_barrier
	buffer_gl0_inv
	s_and_saveexec_b32 s0, vcc_lo
	s_cbranch_execz .LBB0_19
; %bb.18:
	v_lshl_add_u32 v40, v60, 4, 0
	v_dual_mov_b32 v11, v61 :: v_dual_add_nc_u32 v10, 0xa0, v60
	v_lshlrev_b64 v[8:9], 4, v[60:61]
	v_add_co_u32 v41, vcc_lo, s8, v62
	ds_load_b128 v[0:3], v40
	ds_load_b128 v[4:7], v40 offset:2560
	v_add_co_ci_u32_e32 v42, vcc_lo, s9, v63, vcc_lo
	v_lshlrev_b64 v[10:11], 4, v[10:11]
	v_add_co_u32 v16, vcc_lo, v41, v8
	v_dual_mov_b32 v13, v61 :: v_dual_add_nc_u32 v12, 0x140, v60
	s_delay_alu instid0(VALU_DEP_4) | instskip(NEXT) | instid1(VALU_DEP_4)
	v_add_co_ci_u32_e32 v17, vcc_lo, v42, v9, vcc_lo
	v_add_co_u32 v18, vcc_lo, v41, v10
	v_dual_mov_b32 v21, v61 :: v_dual_add_nc_u32 v20, 0x1e0, v60
	v_add_co_ci_u32_e32 v19, vcc_lo, v42, v11, vcc_lo
	v_lshlrev_b64 v[22:23], 4, v[12:13]
	ds_load_b128 v[8:11], v40 offset:5120
	ds_load_b128 v[12:15], v40 offset:48640
	s_waitcnt lgkmcnt(3)
	global_store_b128 v[16:17], v[0:3], off
	s_waitcnt lgkmcnt(2)
	global_store_b128 v[18:19], v[4:7], off
	v_lshlrev_b64 v[0:1], 4, v[20:21]
	v_add_co_u32 v28, vcc_lo, v41, v22
	v_dual_mov_b32 v3, v61 :: v_dual_add_nc_u32 v2, 0x280, v60
	v_add_co_ci_u32_e32 v29, vcc_lo, v42, v23, vcc_lo
	s_delay_alu instid0(VALU_DEP_4)
	v_add_co_u32 v30, vcc_lo, v41, v0
	v_dual_mov_b32 v25, v61 :: v_dual_add_nc_u32 v20, 0x320, v60
	v_add_co_ci_u32_e32 v31, vcc_lo, v42, v1, vcc_lo
	v_lshlrev_b64 v[22:23], 4, v[2:3]
	ds_load_b128 v[0:3], v40 offset:7680
	ds_load_b128 v[4:7], v40 offset:10240
	;; [unrolled: 1-line block ×3, first 2 shown]
	v_lshlrev_b64 v[20:21], 4, v[20:21]
	v_dual_mov_b32 v39, v61 :: v_dual_add_nc_u32 v24, 0x3c0, v60
	v_add_nc_u32_e32 v38, 0x460, v60
	v_add_co_u32 v32, vcc_lo, v41, v22
	v_add_co_ci_u32_e32 v33, vcc_lo, v42, v23, vcc_lo
	v_add_co_u32 v34, vcc_lo, v41, v20
	v_add_co_ci_u32_e32 v35, vcc_lo, v42, v21, vcc_lo
	ds_load_b128 v[20:23], v40 offset:15360
	v_lshlrev_b64 v[36:37], 4, v[24:25]
	ds_load_b128 v[24:27], v40 offset:17920
	s_waitcnt lgkmcnt(6)
	global_store_b128 v[28:29], v[8:11], off
	s_waitcnt lgkmcnt(4)
	global_store_b128 v[30:31], v[0:3], off
	s_waitcnt lgkmcnt(3)
	global_store_b128 v[32:33], v[4:7], off
	s_waitcnt lgkmcnt(2)
	global_store_b128 v[34:35], v[16:19], off
	v_mov_b32_e32 v3, v61
	v_lshlrev_b64 v[0:1], 4, v[38:39]
	v_add_co_u32 v4, vcc_lo, v41, v36
	v_dual_mov_b32 v9, v61 :: v_dual_add_nc_u32 v2, 0x500, v60
	v_add_co_ci_u32_e32 v5, vcc_lo, v42, v37, vcc_lo
	s_delay_alu instid0(VALU_DEP_4)
	v_add_co_u32 v6, vcc_lo, v41, v0
	v_add_nc_u32_e32 v8, 0x5a0, v60
	v_add_co_ci_u32_e32 v7, vcc_lo, v42, v1, vcc_lo
	v_lshlrev_b64 v[10:11], 4, v[2:3]
	ds_load_b128 v[0:3], v40 offset:20480
	s_waitcnt lgkmcnt(2)
	global_store_b128 v[4:5], v[20:23], off
	s_waitcnt lgkmcnt(1)
	global_store_b128 v[6:7], v[24:27], off
	v_mov_b32_e32 v7, v61
	v_lshlrev_b64 v[4:5], 4, v[8:9]
	v_dual_mov_b32 v21, v61 :: v_dual_add_nc_u32 v6, 0x640, v60
	v_add_co_u32 v28, vcc_lo, v41, v10
	v_add_co_ci_u32_e32 v29, vcc_lo, v42, v11, vcc_lo
	s_delay_alu instid0(VALU_DEP_4)
	v_add_co_u32 v30, vcc_lo, v41, v4
	v_dual_mov_b32 v25, v61 :: v_dual_add_nc_u32 v20, 0x6e0, v60
	v_add_co_ci_u32_e32 v31, vcc_lo, v42, v5, vcc_lo
	v_lshlrev_b64 v[22:23], 4, v[6:7]
	ds_load_b128 v[4:7], v40 offset:23040
	ds_load_b128 v[8:11], v40 offset:25600
	;; [unrolled: 1-line block ×3, first 2 shown]
	v_lshlrev_b64 v[20:21], 4, v[20:21]
	v_add_nc_u32_e32 v24, 0x780, v60
	v_add_nc_u32_e32 v38, 0x820, v60
	v_add_co_u32 v32, vcc_lo, v41, v22
	v_add_co_ci_u32_e32 v33, vcc_lo, v42, v23, vcc_lo
	v_add_co_u32 v34, vcc_lo, v41, v20
	v_add_co_ci_u32_e32 v35, vcc_lo, v42, v21, vcc_lo
	ds_load_b128 v[20:23], v40 offset:30720
	v_lshlrev_b64 v[36:37], 4, v[24:25]
	ds_load_b128 v[24:27], v40 offset:33280
	s_waitcnt lgkmcnt(5)
	global_store_b128 v[28:29], v[0:3], off
	s_waitcnt lgkmcnt(4)
	global_store_b128 v[30:31], v[4:7], off
	;; [unrolled: 2-line block ×4, first 2 shown]
	v_mov_b32_e32 v9, v61
	v_lshlrev_b64 v[0:1], 4, v[38:39]
	v_add_co_u32 v4, vcc_lo, v41, v36
	v_dual_mov_b32 v17, v61 :: v_dual_add_nc_u32 v2, 0x8c0, v60
	v_mov_b32_e32 v3, v61
	v_add_co_ci_u32_e32 v5, vcc_lo, v42, v37, vcc_lo
	v_add_co_u32 v6, vcc_lo, v41, v0
	v_dual_mov_b32 v19, v61 :: v_dual_add_nc_u32 v8, 0x960, v60
	v_add_co_ci_u32_e32 v7, vcc_lo, v42, v1, vcc_lo
	v_lshlrev_b64 v[10:11], 4, v[2:3]
	v_dual_mov_b32 v29, v61 :: v_dual_add_nc_u32 v16, 0xa00, v60
	ds_load_b128 v[0:3], v40 offset:35840
	s_waitcnt lgkmcnt(2)
	global_store_b128 v[4:5], v[20:23], off
	s_waitcnt lgkmcnt(1)
	global_store_b128 v[6:7], v[24:27], off
	v_lshlrev_b64 v[4:5], 4, v[8:9]
	v_add_co_u32 v24, vcc_lo, v41, v10
	v_lshlrev_b64 v[16:17], 4, v[16:17]
	v_add_co_ci_u32_e32 v25, vcc_lo, v42, v11, vcc_lo
	s_delay_alu instid0(VALU_DEP_4)
	v_add_co_u32 v26, vcc_lo, v41, v4
	v_add_nc_u32_e32 v18, 0xaa0, v60
	v_add_co_ci_u32_e32 v27, vcc_lo, v42, v5, vcc_lo
	v_add_co_u32 v30, vcc_lo, v41, v16
	ds_load_b128 v[4:7], v40 offset:38400
	ds_load_b128 v[8:11], v40 offset:40960
	v_add_co_ci_u32_e32 v31, vcc_lo, v42, v17, vcc_lo
	v_lshlrev_b64 v[32:33], 4, v[18:19]
	ds_load_b128 v[16:19], v40 offset:43520
	ds_load_b128 v[20:23], v40 offset:46080
	v_add_nc_u32_e32 v28, 0xb40, v60
	v_add_nc_u32_e32 v60, 0xbe0, v60
	v_add_co_u32 v32, vcc_lo, v41, v32
	s_delay_alu instid0(VALU_DEP_3) | instskip(NEXT) | instid1(VALU_DEP_3)
	v_lshlrev_b64 v[28:29], 4, v[28:29]
	v_lshlrev_b64 v[34:35], 4, v[60:61]
	v_add_co_ci_u32_e32 v33, vcc_lo, v42, v33, vcc_lo
	s_delay_alu instid0(VALU_DEP_3) | instskip(NEXT) | instid1(VALU_DEP_4)
	v_add_co_u32 v28, vcc_lo, v41, v28
	v_add_co_ci_u32_e32 v29, vcc_lo, v42, v29, vcc_lo
	s_delay_alu instid0(VALU_DEP_4)
	v_add_co_u32 v34, vcc_lo, v41, v34
	v_add_co_ci_u32_e32 v35, vcc_lo, v42, v35, vcc_lo
	s_waitcnt lgkmcnt(4)
	global_store_b128 v[24:25], v[0:3], off
	s_waitcnt lgkmcnt(3)
	global_store_b128 v[26:27], v[4:7], off
	;; [unrolled: 2-line block ×4, first 2 shown]
	s_waitcnt lgkmcnt(0)
	s_clause 0x1
	global_store_b128 v[28:29], v[20:23], off
	global_store_b128 v[34:35], v[12:15], off
.LBB0_19:
	s_nop 0
	s_sendmsg sendmsg(MSG_DEALLOC_VGPRS)
	s_endpgm
	.section	.rodata,"a",@progbits
	.p2align	6, 0x0
	.amdhsa_kernel fft_rtc_fwd_len3200_factors_10_10_4_4_2_wgs_160_tpt_160_halfLds_dp_ip_CI_unitstride_sbrr_C2R_dirReg
		.amdhsa_group_segment_fixed_size 0
		.amdhsa_private_segment_fixed_size 0
		.amdhsa_kernarg_size 88
		.amdhsa_user_sgpr_count 15
		.amdhsa_user_sgpr_dispatch_ptr 0
		.amdhsa_user_sgpr_queue_ptr 0
		.amdhsa_user_sgpr_kernarg_segment_ptr 1
		.amdhsa_user_sgpr_dispatch_id 0
		.amdhsa_user_sgpr_private_segment_size 0
		.amdhsa_wavefront_size32 1
		.amdhsa_uses_dynamic_stack 0
		.amdhsa_enable_private_segment 0
		.amdhsa_system_sgpr_workgroup_id_x 1
		.amdhsa_system_sgpr_workgroup_id_y 0
		.amdhsa_system_sgpr_workgroup_id_z 0
		.amdhsa_system_sgpr_workgroup_info 0
		.amdhsa_system_vgpr_workitem_id 0
		.amdhsa_next_free_vgpr 189
		.amdhsa_next_free_sgpr 21
		.amdhsa_reserve_vcc 1
		.amdhsa_float_round_mode_32 0
		.amdhsa_float_round_mode_16_64 0
		.amdhsa_float_denorm_mode_32 3
		.amdhsa_float_denorm_mode_16_64 3
		.amdhsa_dx10_clamp 1
		.amdhsa_ieee_mode 1
		.amdhsa_fp16_overflow 0
		.amdhsa_workgroup_processor_mode 1
		.amdhsa_memory_ordered 1
		.amdhsa_forward_progress 0
		.amdhsa_shared_vgpr_count 0
		.amdhsa_exception_fp_ieee_invalid_op 0
		.amdhsa_exception_fp_denorm_src 0
		.amdhsa_exception_fp_ieee_div_zero 0
		.amdhsa_exception_fp_ieee_overflow 0
		.amdhsa_exception_fp_ieee_underflow 0
		.amdhsa_exception_fp_ieee_inexact 0
		.amdhsa_exception_int_div_zero 0
	.end_amdhsa_kernel
	.text
.Lfunc_end0:
	.size	fft_rtc_fwd_len3200_factors_10_10_4_4_2_wgs_160_tpt_160_halfLds_dp_ip_CI_unitstride_sbrr_C2R_dirReg, .Lfunc_end0-fft_rtc_fwd_len3200_factors_10_10_4_4_2_wgs_160_tpt_160_halfLds_dp_ip_CI_unitstride_sbrr_C2R_dirReg
                                        ; -- End function
	.section	.AMDGPU.csdata,"",@progbits
; Kernel info:
; codeLenInByte = 17332
; NumSgprs: 23
; NumVgprs: 189
; ScratchSize: 0
; MemoryBound: 0
; FloatMode: 240
; IeeeMode: 1
; LDSByteSize: 0 bytes/workgroup (compile time only)
; SGPRBlocks: 2
; VGPRBlocks: 23
; NumSGPRsForWavesPerEU: 23
; NumVGPRsForWavesPerEU: 189
; Occupancy: 8
; WaveLimiterHint : 1
; COMPUTE_PGM_RSRC2:SCRATCH_EN: 0
; COMPUTE_PGM_RSRC2:USER_SGPR: 15
; COMPUTE_PGM_RSRC2:TRAP_HANDLER: 0
; COMPUTE_PGM_RSRC2:TGID_X_EN: 1
; COMPUTE_PGM_RSRC2:TGID_Y_EN: 0
; COMPUTE_PGM_RSRC2:TGID_Z_EN: 0
; COMPUTE_PGM_RSRC2:TIDIG_COMP_CNT: 0
	.text
	.p2alignl 7, 3214868480
	.fill 96, 4, 3214868480
	.type	__hip_cuid_4efc7bc99263b820,@object ; @__hip_cuid_4efc7bc99263b820
	.section	.bss,"aw",@nobits
	.globl	__hip_cuid_4efc7bc99263b820
__hip_cuid_4efc7bc99263b820:
	.byte	0                               ; 0x0
	.size	__hip_cuid_4efc7bc99263b820, 1

	.ident	"AMD clang version 19.0.0git (https://github.com/RadeonOpenCompute/llvm-project roc-6.4.0 25133 c7fe45cf4b819c5991fe208aaa96edf142730f1d)"
	.section	".note.GNU-stack","",@progbits
	.addrsig
	.addrsig_sym __hip_cuid_4efc7bc99263b820
	.amdgpu_metadata
---
amdhsa.kernels:
  - .args:
      - .actual_access:  read_only
        .address_space:  global
        .offset:         0
        .size:           8
        .value_kind:     global_buffer
      - .offset:         8
        .size:           8
        .value_kind:     by_value
      - .actual_access:  read_only
        .address_space:  global
        .offset:         16
        .size:           8
        .value_kind:     global_buffer
      - .actual_access:  read_only
        .address_space:  global
        .offset:         24
        .size:           8
        .value_kind:     global_buffer
      - .offset:         32
        .size:           8
        .value_kind:     by_value
      - .actual_access:  read_only
        .address_space:  global
        .offset:         40
        .size:           8
        .value_kind:     global_buffer
      - .actual_access:  read_only
        .address_space:  global
        .offset:         48
        .size:           8
        .value_kind:     global_buffer
      - .offset:         56
        .size:           4
        .value_kind:     by_value
      - .actual_access:  read_only
        .address_space:  global
        .offset:         64
        .size:           8
        .value_kind:     global_buffer
      - .actual_access:  read_only
        .address_space:  global
        .offset:         72
        .size:           8
        .value_kind:     global_buffer
      - .address_space:  global
        .offset:         80
        .size:           8
        .value_kind:     global_buffer
    .group_segment_fixed_size: 0
    .kernarg_segment_align: 8
    .kernarg_segment_size: 88
    .language:       OpenCL C
    .language_version:
      - 2
      - 0
    .max_flat_workgroup_size: 160
    .name:           fft_rtc_fwd_len3200_factors_10_10_4_4_2_wgs_160_tpt_160_halfLds_dp_ip_CI_unitstride_sbrr_C2R_dirReg
    .private_segment_fixed_size: 0
    .sgpr_count:     23
    .sgpr_spill_count: 0
    .symbol:         fft_rtc_fwd_len3200_factors_10_10_4_4_2_wgs_160_tpt_160_halfLds_dp_ip_CI_unitstride_sbrr_C2R_dirReg.kd
    .uniform_work_group_size: 1
    .uses_dynamic_stack: false
    .vgpr_count:     189
    .vgpr_spill_count: 0
    .wavefront_size: 32
    .workgroup_processor_mode: 1
amdhsa.target:   amdgcn-amd-amdhsa--gfx1100
amdhsa.version:
  - 1
  - 2
...

	.end_amdgpu_metadata
